;; amdgpu-corpus repo=ROCm/rocFFT kind=compiled arch=gfx1201 opt=O3
	.text
	.amdgcn_target "amdgcn-amd-amdhsa--gfx1201"
	.amdhsa_code_object_version 6
	.protected	bluestein_single_fwd_len520_dim1_sp_op_CI_CI ; -- Begin function bluestein_single_fwd_len520_dim1_sp_op_CI_CI
	.globl	bluestein_single_fwd_len520_dim1_sp_op_CI_CI
	.p2align	8
	.type	bluestein_single_fwd_len520_dim1_sp_op_CI_CI,@function
bluestein_single_fwd_len520_dim1_sp_op_CI_CI: ; @bluestein_single_fwd_len520_dim1_sp_op_CI_CI
; %bb.0:
	s_load_b128 s[8:11], s[0:1], 0x28
	v_mul_u32_u24_e32 v1, 0x4ed, v0
	s_mov_b32 s2, exec_lo
	v_mov_b32_e32 v57, 0
	s_delay_alu instid0(VALU_DEP_2) | instskip(NEXT) | instid1(VALU_DEP_1)
	v_lshrrev_b32_e32 v1, 16, v1
	v_add_nc_u32_e32 v56, ttmp9, v1
	s_wait_kmcnt 0x0
	s_delay_alu instid0(VALU_DEP_1)
	v_cmpx_gt_u64_e64 s[8:9], v[56:57]
	s_cbranch_execz .LBB0_23
; %bb.1:
	v_mul_lo_u16 v1, v1, 52
	s_clause 0x1
	s_load_b64 s[12:13], s[0:1], 0x0
	s_load_b64 s[8:9], s[0:1], 0x38
	s_delay_alu instid0(VALU_DEP_1) | instskip(NEXT) | instid1(VALU_DEP_1)
	v_sub_nc_u16 v0, v0, v1
	v_and_b32_e32 v71, 0xffff, v0
	v_cmp_gt_u16_e32 vcc_lo, 40, v0
	s_delay_alu instid0(VALU_DEP_2)
	v_lshlrev_b32_e32 v70, 3, v71
	v_or_b32_e32 v69, 0x140, v71
	s_and_saveexec_b32 s3, vcc_lo
	s_cbranch_execz .LBB0_3
; %bb.2:
	s_load_b64 s[4:5], s[0:1], 0x18
	s_wait_kmcnt 0x0
	s_load_b128 s[4:7], s[4:5], 0x0
	s_clause 0x1
	global_load_b64 v[11:12], v70, s[12:13]
	global_load_b64 v[13:14], v70, s[12:13] offset:320
	s_wait_kmcnt 0x0
	v_mad_co_u64_u32 v[0:1], null, s6, v56, 0
	v_mad_co_u64_u32 v[2:3], null, s4, v71, 0
	s_delay_alu instid0(VALU_DEP_1) | instskip(SKIP_1) | instid1(VALU_DEP_1)
	v_mad_co_u64_u32 v[4:5], null, s7, v56, v[1:2]
	s_mul_u64 s[6:7], s[4:5], 0x140
	v_mad_co_u64_u32 v[5:6], null, s5, v71, v[3:4]
	v_mov_b32_e32 v1, v4
	s_delay_alu instid0(VALU_DEP_1) | instskip(NEXT) | instid1(VALU_DEP_3)
	v_lshlrev_b64_e32 v[0:1], 3, v[0:1]
	v_mov_b32_e32 v3, v5
	s_delay_alu instid0(VALU_DEP_2) | instskip(NEXT) | instid1(VALU_DEP_2)
	v_add_co_u32 v21, s2, s10, v0
	v_lshlrev_b64_e32 v[2:3], 3, v[2:3]
	s_delay_alu instid0(VALU_DEP_4) | instskip(SKIP_1) | instid1(VALU_DEP_3)
	v_add_co_ci_u32_e64 v22, s2, s11, v1, s2
	v_mad_co_u64_u32 v[0:1], null, s4, v69, 0
	v_add_co_u32 v2, s2, v21, v2
	s_wait_alu 0xf1ff
	s_delay_alu instid0(VALU_DEP_3) | instskip(SKIP_1) | instid1(VALU_DEP_2)
	v_add_co_ci_u32_e64 v3, s2, v22, v3, s2
	s_wait_alu 0xfffe
	v_add_co_u32 v4, s2, v2, s6
	s_wait_alu 0xf1ff
	s_delay_alu instid0(VALU_DEP_2) | instskip(SKIP_1) | instid1(VALU_DEP_3)
	v_add_co_ci_u32_e64 v5, s2, s7, v3, s2
	v_mad_co_u64_u32 v[8:9], null, s5, v69, v[1:2]
	v_add_co_u32 v6, s2, v4, s6
	s_wait_alu 0xf1ff
	s_delay_alu instid0(VALU_DEP_3) | instskip(NEXT) | instid1(VALU_DEP_2)
	v_add_co_ci_u32_e64 v7, s2, s7, v5, s2
	v_add_co_u32 v9, s2, v6, s6
	s_wait_alu 0xf1ff
	s_delay_alu instid0(VALU_DEP_2) | instskip(SKIP_1) | instid1(VALU_DEP_3)
	v_add_co_ci_u32_e64 v10, s2, s7, v7, s2
	v_mov_b32_e32 v1, v8
	v_add_co_u32 v15, s2, v9, s6
	s_wait_alu 0xf1ff
	s_delay_alu instid0(VALU_DEP_3) | instskip(NEXT) | instid1(VALU_DEP_3)
	v_add_co_ci_u32_e64 v16, s2, s7, v10, s2
	v_lshlrev_b64_e32 v[0:1], 3, v[0:1]
	s_delay_alu instid0(VALU_DEP_3) | instskip(SKIP_1) | instid1(VALU_DEP_3)
	v_add_co_u32 v17, s2, v15, s6
	s_wait_alu 0xf1ff
	v_add_co_ci_u32_e64 v18, s2, s7, v16, s2
	s_delay_alu instid0(VALU_DEP_2) | instskip(SKIP_1) | instid1(VALU_DEP_2)
	v_add_co_u32 v19, s2, v17, s6
	s_wait_alu 0xf1ff
	v_add_co_ci_u32_e64 v20, s2, s7, v18, s2
	v_add_co_u32 v0, s2, v21, v0
	s_wait_alu 0xf1ff
	v_add_co_ci_u32_e64 v1, s2, v22, v1, s2
	v_add_co_u32 v21, s2, v19, s6
	s_wait_alu 0xf1ff
	v_add_co_ci_u32_e64 v22, s2, s7, v20, s2
	global_load_b64 v[2:3], v[2:3], off
	global_load_b64 v[23:24], v70, s[12:13] offset:2560
	s_clause 0x2
	global_load_b64 v[0:1], v[0:1], off
	global_load_b64 v[4:5], v[4:5], off
	;; [unrolled: 1-line block ×3, first 2 shown]
	s_clause 0x1
	global_load_b64 v[27:28], v70, s[12:13] offset:640
	global_load_b64 v[29:30], v70, s[12:13] offset:960
	s_clause 0x1
	global_load_b64 v[8:9], v[9:10], off
	global_load_b64 v[15:16], v[15:16], off
	v_mad_co_u64_u32 v[25:26], null, 0x280, s4, v[21:22]
	s_delay_alu instid0(VALU_DEP_1) | instskip(NEXT) | instid1(VALU_DEP_2)
	v_dual_mov_b32 v10, v26 :: v_dual_add_nc_u32 v57, 0x800, v70
	v_add_co_u32 v44, s2, v25, s6
	s_wait_loadcnt 0xa
	s_delay_alu instid0(VALU_DEP_2)
	v_mad_co_u64_u32 v[31:32], null, 0x280, s5, v[10:11]
	s_clause 0x5
	global_load_b64 v[32:33], v70, s[12:13] offset:1280
	global_load_b64 v[34:35], v70, s[12:13] offset:1600
	;; [unrolled: 1-line block ×6, first 2 shown]
	global_load_b64 v[17:18], v[17:18], off
	global_load_b64 v[19:20], v[19:20], off
	;; [unrolled: 1-line block ×3, first 2 shown]
	v_dual_mov_b32 v26, v31 :: v_dual_add_nc_u32 v31, 0x400, v70
	s_wait_alu 0xf1ff
	s_delay_alu instid0(VALU_DEP_1)
	v_add_co_ci_u32_e64 v45, s2, s7, v26, s2
	v_add_co_u32 v46, s2, v44, s6
	global_load_b64 v[25:26], v[25:26], off
	s_wait_alu 0xf1ff
	v_add_co_ci_u32_e64 v47, s2, s7, v45, s2
	global_load_b64 v[44:45], v[44:45], off
	v_add_co_u32 v48, s2, v46, s6
	s_wait_alu 0xf1ff
	v_add_co_ci_u32_e64 v49, s2, s7, v47, s2
	global_load_b64 v[50:51], v70, s[12:13] offset:3520
	global_load_b64 v[46:47], v[46:47], off
	global_load_b64 v[52:53], v70, s[12:13] offset:3840
	global_load_b64 v[48:49], v[48:49], off
	s_wait_loadcnt 0x17
	v_mul_f32_e32 v10, v3, v12
	v_mul_f32_e32 v55, v2, v12
	s_wait_loadcnt 0x15
	v_mul_f32_e32 v12, v1, v24
	s_wait_loadcnt 0x14
	v_mul_f32_e32 v54, v5, v14
	v_mul_f32_e32 v24, v0, v24
	v_fmac_f32_e32 v10, v2, v11
	v_fma_f32 v11, v3, v11, -v55
	v_mul_f32_e32 v3, v4, v14
	v_fmac_f32_e32 v12, v0, v23
	v_fmac_f32_e32 v54, v4, v13
	s_wait_loadcnt 0x12
	v_mul_f32_e32 v2, v7, v28
	v_mul_f32_e32 v0, v6, v28
	s_wait_loadcnt 0x10
	v_mul_f32_e32 v4, v9, v30
	v_mul_f32_e32 v14, v8, v30
	v_fma_f32 v55, v5, v13, -v3
	v_fma_f32 v13, v1, v23, -v24
	;; [unrolled: 1-line block ×3, first 2 shown]
	s_delay_alu instid0(VALU_DEP_4) | instskip(SKIP_4) | instid1(VALU_DEP_2)
	v_fma_f32 v5, v9, v29, -v14
	ds_store_2addr_b64 v70, v[10:11], v[54:55] offset1:40
	s_wait_loadcnt 0xe
	v_mul_f32_e32 v0, v16, v33
	v_mul_f32_e32 v1, v15, v33
	v_fmac_f32_e32 v0, v15, v32
	s_delay_alu instid0(VALU_DEP_2) | instskip(SKIP_4) | instid1(VALU_DEP_3)
	v_fma_f32 v1, v16, v32, -v1
	s_wait_loadcnt 0x6
	v_mul_f32_e32 v7, v21, v39
	v_fmac_f32_e32 v2, v6, v27
	v_mul_f32_e32 v6, v22, v39
	v_fma_f32 v7, v22, v38, -v7
	s_delay_alu instid0(VALU_DEP_2)
	v_fmac_f32_e32 v6, v21, v38
	s_wait_loadcnt 0x5
	v_mul_f32_e32 v9, v25, v41
	s_wait_loadcnt 0x4
	v_mul_f32_e32 v11, v44, v43
	v_fmac_f32_e32 v4, v8, v29
	v_mul_f32_e32 v8, v26, v41
	s_wait_loadcnt 0x2
	v_mul_f32_e32 v15, v46, v51
	v_mul_f32_e32 v10, v45, v43
	;; [unrolled: 1-line block ×3, first 2 shown]
	ds_store_2addr_b64 v70, v[2:3], v[4:5] offset0:80 offset1:120
	v_mul_f32_e32 v2, v18, v35
	v_dual_mul_f32 v3, v17, v35 :: v_dual_mul_f32 v4, v20, v37
	v_mul_f32_e32 v5, v19, v37
	s_wait_loadcnt 0x0
	v_mul_f32_e32 v16, v49, v53
	v_dual_fmac_f32 v2, v17, v34 :: v_dual_mul_f32 v17, v48, v53
	v_fma_f32 v3, v18, v34, -v3
	v_fmac_f32_e32 v4, v19, v36
	v_fma_f32 v5, v20, v36, -v5
	v_fmac_f32_e32 v8, v25, v40
	;; [unrolled: 2-line block ×5, first 2 shown]
	v_fma_f32 v17, v49, v52, -v17
	ds_store_2addr_b64 v70, v[0:1], v[2:3] offset0:160 offset1:200
	ds_store_2addr_b64 v31, v[4:5], v[6:7] offset0:112 offset1:152
	;; [unrolled: 1-line block ×4, first 2 shown]
	ds_store_b64 v70, v[16:17] offset:3840
.LBB0_3:
	s_or_b32 exec_lo, exec_lo, s3
	s_load_b64 s[4:5], s[0:1], 0x20
	v_mov_b32_e32 v4, 0
	v_mov_b32_e32 v5, 0
	global_wb scope:SCOPE_SE
	s_wait_dscnt 0x0
	s_wait_kmcnt 0x0
	s_barrier_signal -1
	s_barrier_wait -1
	global_inv scope:SCOPE_SE
                                        ; implicit-def: $vgpr14
                                        ; implicit-def: $vgpr2
                                        ; implicit-def: $vgpr24
                                        ; implicit-def: $vgpr10
                                        ; implicit-def: $vgpr18
                                        ; implicit-def: $vgpr22
	s_and_saveexec_b32 s2, vcc_lo
	s_cbranch_execz .LBB0_5
; %bb.4:
	v_add_nc_u32_e32 v0, 0x400, v70
	v_add_nc_u32_e32 v1, 0x800, v70
	ds_load_2addr_b64 v[4:7], v70 offset1:40
	ds_load_2addr_b64 v[20:23], v70 offset0:80 offset1:120
	ds_load_2addr_b64 v[16:19], v70 offset0:160 offset1:200
	;; [unrolled: 1-line block ×5, first 2 shown]
	ds_load_b64 v[24:25], v70 offset:3840
.LBB0_5:
	s_wait_alu 0xfffe
	s_or_b32 exec_lo, exec_lo, s2
	s_wait_dscnt 0x0
	v_dual_sub_f32 v82, v7, v25 :: v_dual_sub_f32 v77, v6, v24
	v_dual_add_f32 v26, v24, v6 :: v_dual_add_f32 v27, v25, v7
	v_sub_f32_e32 v96, v19, v9
	s_delay_alu instid0(VALU_DEP_3) | instskip(SKIP_2) | instid1(VALU_DEP_3)
	v_dual_mul_f32 v46, 0xbf52af12, v82 :: v_dual_mul_f32 v51, 0xbf52af12, v77
	v_dual_mul_f32 v37, 0xbeedf032, v82 :: v_dual_mul_f32 v40, 0xbeedf032, v77
	v_dual_mul_f32 v60, 0xbf7e222b, v82 :: v_dual_sub_f32 v85, v21, v3
	v_fma_f32 v31, 0x3f116cb1, v27, -v51
	s_delay_alu instid0(VALU_DEP_4) | instskip(NEXT) | instid1(VALU_DEP_4)
	v_fmamk_f32 v30, v26, 0x3f116cb1, v46
	v_fma_f32 v29, 0x3f62ad3f, v27, -v40
	v_dual_fmamk_f32 v28, v26, 0x3f62ad3f, v37 :: v_dual_sub_f32 v79, v20, v2
	s_delay_alu instid0(VALU_DEP_3) | instskip(NEXT) | instid1(VALU_DEP_2)
	v_dual_add_f32 v31, v31, v5 :: v_dual_add_f32 v30, v30, v4
	v_dual_add_f32 v29, v29, v5 :: v_dual_add_f32 v28, v28, v4
	v_add_f32_e32 v33, v3, v21
	s_delay_alu instid0(VALU_DEP_4) | instskip(SKIP_2) | instid1(VALU_DEP_3)
	v_dual_mul_f32 v43, 0xbf52af12, v79 :: v_dual_add_f32 v32, v2, v20
	v_mul_f32_e32 v39, 0xbf52af12, v85
	v_dual_mul_f32 v52, 0xbf6f5d39, v85 :: v_dual_mul_f32 v59, 0xbf6f5d39, v79
	v_fma_f32 v35, 0x3f116cb1, v33, -v43
	v_fmamk_f32 v34, v26, 0x3df6dbef, v60
	s_load_b64 s[2:3], s[0:1], 0x8
	s_delay_alu instid0(VALU_DEP_3) | instskip(NEXT) | instid1(VALU_DEP_3)
	v_dual_fmamk_f32 v38, v32, 0xbeb58ec6, v52 :: v_dual_sub_f32 v81, v22, v0
	v_add_f32_e32 v29, v35, v29
	s_delay_alu instid0(VALU_DEP_3) | instskip(SKIP_1) | instid1(VALU_DEP_4)
	v_dual_add_f32 v35, v1, v23 :: v_dual_add_f32 v36, v34, v4
	v_fmamk_f32 v34, v32, 0x3f116cb1, v39
	v_dual_add_f32 v30, v38, v30 :: v_dual_mul_f32 v45, 0xbf7e222b, v81
	v_mul_f32_e32 v67, 0xbe750f2a, v85
	s_delay_alu instid0(VALU_DEP_3)
	v_dual_mul_f32 v61, 0xbe750f2a, v81 :: v_dual_add_f32 v28, v34, v28
	v_add_f32_e32 v34, v0, v22
	v_sub_f32_e32 v86, v23, v1
	v_fma_f32 v42, 0x3df6dbef, v35, -v45
	v_fma_f32 v41, 0xbeb58ec6, v33, -v59
	v_fmamk_f32 v38, v32, 0xbf788fa5, v67
	v_mul_f32_e32 v66, 0xbf7e222b, v77
	v_fma_f32 v48, 0xbf788fa5, v35, -v61
	v_add_f32_e32 v29, v42, v29
	v_dual_add_f32 v31, v41, v31 :: v_dual_mul_f32 v44, 0xbf7e222b, v86
	v_add_f32_e32 v49, v38, v36
	v_add_f32_e32 v36, v10, v16
	v_fma_f32 v57, 0x3df6dbef, v27, -v66
	v_mul_f32_e32 v94, 0xbe750f2a, v79
	v_fmamk_f32 v41, v34, 0x3df6dbef, v44
	v_dual_mul_f32 v55, 0xbe750f2a, v86 :: v_dual_sub_f32 v90, v17, v11
	v_mul_f32_e32 v73, 0x3f6f5d39, v86
	v_sub_f32_e32 v84, v16, v10
	s_delay_alu instid0(VALU_DEP_3) | instskip(SKIP_1) | instid1(VALU_DEP_4)
	v_dual_add_f32 v28, v41, v28 :: v_dual_fmamk_f32 v47, v34, 0xbf788fa5, v55
	v_dual_add_f32 v31, v48, v31 :: v_dual_add_f32 v38, v11, v17
	v_fmamk_f32 v41, v34, 0xbeb58ec6, v73
	s_delay_alu instid0(VALU_DEP_4) | instskip(NEXT) | instid1(VALU_DEP_4)
	v_mul_f32_e32 v48, 0xbf6f5d39, v84
	v_add_f32_e32 v30, v47, v30
	v_mul_f32_e32 v47, 0xbf6f5d39, v90
	s_delay_alu instid0(VALU_DEP_4) | instskip(NEXT) | instid1(VALU_DEP_4)
	v_dual_mul_f32 v64, 0x3f29c268, v84 :: v_dual_add_f32 v49, v41, v49
	v_fma_f32 v50, 0xbeb58ec6, v38, -v48
	v_mul_f32_e32 v62, 0x3f29c268, v90
	s_delay_alu instid0(VALU_DEP_4) | instskip(NEXT) | instid1(VALU_DEP_4)
	v_dual_fmamk_f32 v42, v36, 0xbeb58ec6, v47 :: v_dual_sub_f32 v87, v18, v8
	v_fma_f32 v54, 0xbf3f9e67, v38, -v64
	s_delay_alu instid0(VALU_DEP_4) | instskip(NEXT) | instid1(VALU_DEP_3)
	v_add_f32_e32 v29, v50, v29
	v_dual_fmamk_f32 v53, v36, 0xbf3f9e67, v62 :: v_dual_add_f32 v28, v42, v28
	v_add_f32_e32 v41, v8, v18
	s_delay_alu instid0(VALU_DEP_4)
	v_add_f32_e32 v31, v54, v31
	v_dual_add_f32 v42, v9, v19 :: v_dual_mul_f32 v75, 0xbf52af12, v96
	v_dual_mul_f32 v54, 0xbf29c268, v87 :: v_dual_sub_f32 v91, v12, v14
	v_mul_f32_e32 v74, 0x3f7e222b, v87
	v_sub_f32_e32 v95, v13, v15
	v_dual_add_f32 v30, v53, v30 :: v_dual_mul_f32 v53, 0xbf29c268, v96
	s_delay_alu instid0(VALU_DEP_4) | instskip(SKIP_2) | instid1(VALU_DEP_3)
	v_fma_f32 v63, 0xbf3f9e67, v42, -v54
	v_dual_mul_f32 v78, 0x3eedf032, v90 :: v_dual_add_f32 v57, v57, v5
	v_fma_f32 v83, 0xbf788fa5, v33, -v94
	v_dual_mul_f32 v88, 0xbf52af12, v87 :: v_dual_add_f32 v29, v63, v29
	s_delay_alu instid0(VALU_DEP_3) | instskip(NEXT) | instid1(VALU_DEP_3)
	v_fmamk_f32 v50, v36, 0x3f62ad3f, v78
	v_dual_fmamk_f32 v58, v41, 0xbf3f9e67, v53 :: v_dual_add_f32 v57, v83, v57
	v_mul_f32_e32 v93, 0x3f6f5d39, v81
	s_delay_alu instid0(VALU_DEP_4) | instskip(NEXT) | instid1(VALU_DEP_4)
	v_fma_f32 v100, 0x3f116cb1, v42, -v88
	v_add_f32_e32 v72, v50, v49
	v_fma_f32 v50, 0x3df6dbef, v42, -v74
	v_mul_f32_e32 v68, 0x3f7e222b, v96
	v_fma_f32 v83, 0xbeb58ec6, v35, -v93
	v_mul_f32_e32 v92, 0x3eedf032, v84
	v_dual_add_f32 v28, v58, v28 :: v_dual_mul_f32 v63, 0xbe750f2a, v95
	v_add_f32_e32 v31, v50, v31
	v_fmamk_f32 v49, v41, 0x3df6dbef, v68
	v_dual_fmamk_f32 v58, v41, 0x3f116cb1, v75 :: v_dual_add_f32 v57, v83, v57
	v_dual_add_f32 v50, v15, v13 :: v_dual_mul_f32 v65, 0xbe750f2a, v91
	s_delay_alu instid0(VALU_DEP_3) | instskip(SKIP_2) | instid1(VALU_DEP_4)
	v_add_f32_e32 v30, v49, v30
	v_fma_f32 v89, 0x3f62ad3f, v38, -v92
	v_dual_add_f32 v49, v14, v12 :: v_dual_mul_f32 v76, 0x3eedf032, v95
	v_fma_f32 v97, 0xbf788fa5, v50, -v65
	v_dual_add_f32 v72, v58, v72 :: v_dual_mul_f32 v83, 0xbf29c268, v95
	s_delay_alu instid0(VALU_DEP_4)
	v_add_f32_e32 v99, v89, v57
	v_mul_f32_e32 v89, 0xbf29c268, v91
	v_fmamk_f32 v98, v49, 0x3f62ad3f, v76
	global_wb scope:SCOPE_SE
	s_wait_kmcnt 0x0
	s_barrier_signal -1
	v_add_f32_e32 v99, v100, v99
	v_fma_f32 v100, 0xbf3f9e67, v50, -v89
	v_fmamk_f32 v58, v49, 0xbf788fa5, v63
	v_mul_f32_e32 v80, 0x3eedf032, v91
	s_barrier_wait -1
	global_inv scope:SCOPE_SE
	v_add_f32_e32 v57, v58, v28
	v_fma_f32 v101, 0x3f62ad3f, v50, -v80
	v_fmamk_f32 v28, v49, 0xbf3f9e67, v83
	v_add_f32_e32 v58, v97, v29
	v_dual_add_f32 v30, v98, v30 :: v_dual_add_f32 v29, v100, v99
	s_delay_alu instid0(VALU_DEP_3)
	v_dual_add_f32 v31, v101, v31 :: v_dual_add_f32 v28, v28, v72
	v_mul_lo_u16 v72, v71, 13
	s_and_saveexec_b32 s0, vcc_lo
	s_cbranch_execz .LBB0_7
; %bb.6:
	v_mul_f32_e32 v107, 0xbf6f5d39, v82
	v_mul_f32_e32 v101, 0xbeb58ec6, v27
	;; [unrolled: 1-line block ×4, first 2 shown]
	v_dual_mul_f32 v117, 0x3f52af12, v95 :: v_dual_mul_f32 v120, 0x3f52af12, v84
	v_fmamk_f32 v100, v26, 0xbeb58ec6, v107
	v_mul_f32_e32 v103, 0x3f62ad3f, v35
	v_fmamk_f32 v112, v32, 0xbf3f9e67, v108
	s_delay_alu instid0(VALU_DEP_4) | instskip(NEXT) | instid1(VALU_DEP_4)
	v_dual_fmamk_f32 v123, v49, 0x3f116cb1, v117 :: v_dual_fmamk_f32 v124, v38, 0x3f116cb1, v120
	v_dual_add_f32 v100, v100, v4 :: v_dual_mul_f32 v105, 0xbf788fa5, v42
	v_mul_f32_e32 v126, 0xbf6f5d39, v87
	v_mul_f32_e32 v125, 0x3f52af12, v90
	;; [unrolled: 1-line block ×3, first 2 shown]
	s_delay_alu instid0(VALU_DEP_4)
	v_add_f32_e32 v100, v112, v100
	v_mul_f32_e32 v112, 0x3eedf032, v79
	v_fmamk_f32 v114, v34, 0x3f62ad3f, v109
	v_fmamk_f32 v97, v77, 0x3f6f5d39, v101
	v_mul_f32_e32 v119, 0x3eedf032, v85
	v_mul_f32_e32 v129, 0x3f116cb1, v35
	s_delay_alu instid0(VALU_DEP_4)
	v_dual_fmac_f32 v101, 0xbf6f5d39, v77 :: v_dual_add_f32 v100, v114, v100
	v_mul_f32_e32 v114, 0xbf29c268, v81
	v_mul_f32_e32 v102, 0xbf3f9e67, v33
	v_dual_mul_f32 v104, 0x3df6dbef, v38 :: v_dual_add_f32 v97, v97, v5
	v_fmamk_f32 v99, v81, 0xbeedf032, v103
	v_mul_f32_e32 v130, 0xbf29c268, v82
	s_delay_alu instid0(VALU_DEP_4) | instskip(SKIP_3) | instid1(VALU_DEP_4)
	v_fmamk_f32 v98, v79, 0xbf29c268, v102
	v_mul_f32_e32 v106, 0x3f116cb1, v50
	v_mul_f32_e32 v85, 0x3f7e222b, v85
	v_dual_fmac_f32 v103, 0x3eedf032, v81 :: v_dual_add_f32 v6, v6, v4
	v_dual_add_f32 v97, v98, v97 :: v_dual_mul_f32 v110, 0xbf7e222b, v90
	s_delay_alu instid0(VALU_DEP_4) | instskip(SKIP_1) | instid1(VALU_DEP_3)
	v_fmamk_f32 v121, v91, 0xbf52af12, v106
	v_fmac_f32_e32 v106, 0x3f52af12, v91
	v_dual_add_f32 v6, v20, v6 :: v_dual_add_f32 v97, v99, v97
	s_delay_alu instid0(VALU_DEP_1) | instskip(NEXT) | instid1(VALU_DEP_1)
	v_dual_fmamk_f32 v115, v36, 0x3df6dbef, v110 :: v_dual_add_f32 v6, v22, v6
	v_dual_add_f32 v100, v115, v100 :: v_dual_mul_f32 v115, 0xbe750f2a, v82
	s_delay_alu instid0(VALU_DEP_2) | instskip(NEXT) | instid1(VALU_DEP_2)
	v_dual_mul_f32 v113, 0xbe750f2a, v77 :: v_dual_add_f32 v6, v16, v6
	v_fma_f32 v118, 0xbf788fa5, v26, -v115
	v_fmamk_f32 v99, v87, 0xbe750f2a, v105
	v_fmamk_f32 v98, v84, 0x3f7e222b, v104
	s_delay_alu instid0(VALU_DEP_4) | instskip(NEXT) | instid1(VALU_DEP_2)
	v_dual_fmac_f32 v105, 0x3e750f2a, v87 :: v_dual_add_f32 v6, v18, v6
	v_dual_add_f32 v97, v98, v97 :: v_dual_fmamk_f32 v98, v27, 0xbf788fa5, v113
	s_delay_alu instid0(VALU_DEP_1) | instskip(NEXT) | instid1(VALU_DEP_2)
	v_dual_add_f32 v12, v12, v6 :: v_dual_add_f32 v97, v99, v97
	v_dual_add_f32 v98, v98, v5 :: v_dual_fmamk_f32 v99, v33, 0x3f62ad3f, v112
	v_mul_f32_e32 v111, 0x3e750f2a, v96
	v_fma_f32 v107, 0xbeb58ec6, v26, -v107
	v_mul_f32_e32 v132, 0xbf788fa5, v38
	v_add_f32_e32 v12, v14, v12
	v_add_f32_e32 v98, v99, v98
	v_fmamk_f32 v99, v35, 0xbf3f9e67, v114
	v_add_f32_e32 v107, v107, v4
	v_fmamk_f32 v133, v84, 0xbe750f2a, v132
	v_fmac_f32_e32 v132, 0x3e750f2a, v84
	s_delay_alu instid0(VALU_DEP_4) | instskip(SKIP_2) | instid1(VALU_DEP_3)
	v_dual_fmac_f32 v102, 0x3f29c268, v79 :: v_dual_add_f32 v99, v99, v98
	v_dual_add_f32 v98, v121, v97 :: v_dual_mul_f32 v121, 0xbf3f9e67, v27
	v_fma_f32 v108, 0xbf3f9e67, v32, -v108
	v_dual_mul_f32 v90, 0x3e750f2a, v90 :: v_dual_add_f32 v99, v124, v99
	v_fmamk_f32 v116, v41, 0xbf788fa5, v111
	v_mul_f32_e32 v122, 0xbf29c268, v86
	v_mul_f32_e32 v124, 0x3f7e222b, v91
	s_delay_alu instid0(VALU_DEP_4)
	v_fma_f32 v135, 0xbf788fa5, v36, -v90
	v_mul_f32_e32 v86, 0xbf52af12, v86
	v_add_f32_e32 v100, v116, v100
	v_add_f32_e32 v116, v118, v4
	v_fma_f32 v118, 0x3f62ad3f, v32, -v119
	v_dual_add_f32 v7, v7, v5 :: v_dual_add_f32 v8, v8, v12
	s_delay_alu instid0(VALU_DEP_4) | instskip(SKIP_1) | instid1(VALU_DEP_4)
	v_add_f32_e32 v97, v123, v100
	v_fmamk_f32 v123, v42, 0xbeb58ec6, v126
	v_dual_add_f32 v116, v118, v116 :: v_dual_fmac_f32 v115, 0xbf788fa5, v26
	s_delay_alu instid0(VALU_DEP_2)
	v_dual_add_f32 v8, v10, v8 :: v_dual_add_f32 v99, v123, v99
	v_fmamk_f32 v123, v79, 0xbf7e222b, v128
	v_fmac_f32_e32 v128, 0x3f7e222b, v79
	v_fmamk_f32 v127, v77, 0x3f29c268, v121
	v_fmac_f32_e32 v121, 0xbf29c268, v77
	v_fma_f32 v118, 0xbf3f9e67, v34, -v122
	v_dual_add_f32 v79, v101, v5 :: v_dual_mul_f32 v134, 0x3f62ad3f, v42
	v_mul_f32_e32 v101, 0xbeb58ec6, v50
	s_delay_alu instid0(VALU_DEP_3) | instskip(NEXT) | instid1(VALU_DEP_3)
	v_dual_add_f32 v121, v121, v5 :: v_dual_add_f32 v100, v118, v116
	v_add_f32_e32 v79, v102, v79
	v_fma_f32 v116, 0x3f116cb1, v36, -v125
	s_delay_alu instid0(VALU_DEP_3)
	v_dual_fmac_f32 v119, 0x3f62ad3f, v32 :: v_dual_add_f32 v82, v128, v121
	v_fmac_f32_e32 v104, 0xbf7e222b, v84
	v_fma_f32 v84, 0x3df6dbef, v36, -v110
	v_fmamk_f32 v121, v81, 0x3f52af12, v129
	v_fmac_f32_e32 v129, 0xbf52af12, v81
	v_add_f32_e32 v81, v108, v107
	v_fma_f32 v107, 0x3f62ad3f, v34, -v109
	v_dual_add_f32 v79, v103, v79 :: v_dual_add_f32 v100, v116, v100
	s_delay_alu instid0(VALU_DEP_4) | instskip(SKIP_3) | instid1(VALU_DEP_4)
	v_add_f32_e32 v82, v129, v82
	v_fma_f32 v129, 0x3df6dbef, v32, -v85
	v_mul_f32_e32 v118, 0xbf6f5d39, v96
	v_dual_mul_f32 v96, 0x3eedf032, v96 :: v_dual_add_f32 v81, v107, v81
	v_add_f32_e32 v82, v132, v82
	v_dual_fmamk_f32 v132, v87, 0xbeedf032, v134 :: v_dual_add_f32 v79, v104, v79
	v_fmac_f32_e32 v134, 0x3eedf032, v87
	s_delay_alu instid0(VALU_DEP_4)
	v_add_f32_e32 v84, v84, v81
	v_fma_f32 v87, 0xbf788fa5, v41, -v111
	v_fmamk_f32 v102, v91, 0x3f6f5d39, v101
	v_fmac_f32_e32 v101, 0xbf6f5d39, v91
	v_fma_f32 v91, 0x3f116cb1, v49, -v117
	v_fma_f32 v116, 0xbeb58ec6, v41, -v118
	v_add_f32_e32 v84, v87, v84
	v_add_f32_e32 v82, v134, v82
	v_mul_f32_e32 v104, 0xbf788fa5, v33
	v_fmamk_f32 v90, v36, 0xbf788fa5, v90
	v_add_f32_e32 v116, v116, v100
	v_dual_add_f32 v84, v91, v84 :: v_dual_mul_f32 v91, 0x3df6dbef, v27
	s_delay_alu instid0(VALU_DEP_4) | instskip(SKIP_4) | instid1(VALU_DEP_4)
	v_add_f32_e32 v94, v94, v104
	v_mul_f32_e32 v104, 0x3df6dbef, v26
	v_mul_f32_e32 v87, 0x3f62ad3f, v26
	;; [unrolled: 1-line block ×3, first 2 shown]
	v_add_f32_e32 v66, v66, v91
	v_dual_mul_f32 v91, 0x3f116cb1, v27 :: v_dual_sub_f32 v60, v104, v60
	v_mul_f32_e32 v107, 0x3df6dbef, v35
	v_mul_f32_e32 v104, 0xbf788fa5, v35
	s_delay_alu instid0(VALU_DEP_4) | instskip(SKIP_1) | instid1(VALU_DEP_2)
	v_dual_add_f32 v66, v66, v5 :: v_dual_mul_f32 v131, 0x3f7e222b, v95
	v_dual_add_f32 v82, v101, v82 :: v_dual_mul_f32 v95, 0xbf6f5d39, v95
	v_dual_add_f32 v101, v127, v5 :: v_dual_add_f32 v66, v94, v66
	s_delay_alu instid0(VALU_DEP_3) | instskip(SKIP_1) | instid1(VALU_DEP_4)
	v_fma_f32 v128, 0x3df6dbef, v49, -v131
	v_fmamk_f32 v100, v50, 0x3df6dbef, v124
	v_fma_f32 v103, 0xbeb58ec6, v49, -v95
	s_delay_alu instid0(VALU_DEP_4)
	v_add_f32_e32 v101, v123, v101
	v_mul_f32_e32 v94, 0x3f116cb1, v33
	v_add_f32_e32 v60, v60, v4
	v_add_f32_e32 v100, v100, v99
	v_fma_f32 v99, 0xbf3f9e67, v26, -v130
	v_dual_add_f32 v61, v61, v104 :: v_dual_mul_f32 v104, 0xbf788fa5, v49
	v_fmamk_f32 v95, v49, 0xbeb58ec6, v95
	v_add_f32_e32 v43, v43, v94
	s_delay_alu instid0(VALU_DEP_4) | instskip(SKIP_2) | instid1(VALU_DEP_3)
	v_dual_add_f32 v99, v99, v4 :: v_dual_fmac_f32 v122, 0xbf3f9e67, v34
	v_fmac_f32_e32 v125, 0x3f116cb1, v36
	v_dual_fmac_f32 v131, 0x3df6dbef, v49 :: v_dual_add_f32 v0, v0, v8
	v_add_f32_e32 v99, v129, v99
	v_fma_f32 v129, 0x3f116cb1, v34, -v86
	v_dual_fmamk_f32 v86, v34, 0x3f116cb1, v86 :: v_dual_add_f32 v101, v121, v101
	v_fmac_f32_e32 v118, 0xbeb58ec6, v41
	s_delay_alu instid0(VALU_DEP_3)
	v_dual_add_f32 v0, v2, v0 :: v_dual_add_f32 v129, v129, v99
	v_add_f32_e32 v99, v128, v116
	v_fma_f32 v116, 0x3f62ad3f, v41, -v96
	v_fmamk_f32 v96, v41, 0x3f62ad3f, v96
	v_add_f32_e32 v101, v133, v101
	v_add_f32_e32 v77, v135, v129
	v_dual_sub_f32 v37, v87, v37 :: v_dual_add_f32 v0, v24, v0
	s_delay_alu instid0(VALU_DEP_2) | instskip(NEXT) | instid1(VALU_DEP_2)
	v_add_f32_e32 v77, v116, v77
	v_add_f32_e32 v37, v37, v4
	s_delay_alu instid0(VALU_DEP_2) | instskip(SKIP_3) | instid1(VALU_DEP_2)
	v_add_f32_e32 v81, v103, v77
	v_add_f32_e32 v77, v105, v79
	v_mul_f32_e32 v105, 0xbeb58ec6, v35
	v_fmamk_f32 v103, v32, 0x3df6dbef, v85
	v_add_f32_e32 v93, v93, v105
	s_delay_alu instid0(VALU_DEP_1) | instskip(NEXT) | instid1(VALU_DEP_1)
	v_dual_fmamk_f32 v79, v26, 0xbf3f9e67, v130 :: v_dual_add_f32 v66, v93, v66
	v_add_f32_e32 v79, v79, v4
	v_add_f32_e32 v85, v106, v77
	v_dual_mul_f32 v77, 0x3f62ad3f, v27 :: v_dual_mul_f32 v106, 0x3f62ad3f, v38
	v_mul_f32_e32 v93, 0xbf788fa5, v32
	s_delay_alu instid0(VALU_DEP_4) | instskip(SKIP_1) | instid1(VALU_DEP_4)
	v_add_f32_e32 v79, v103, v79
	v_mul_f32_e32 v103, 0x3f116cb1, v26
	v_add_f32_e32 v92, v92, v106
	s_delay_alu instid0(VALU_DEP_3) | instskip(NEXT) | instid1(VALU_DEP_3)
	v_dual_mul_f32 v106, 0x3df6dbef, v34 :: v_dual_add_f32 v79, v86, v79
	v_dual_sub_f32 v67, v93, v67 :: v_dual_sub_f32 v46, v103, v46
	s_delay_alu instid0(VALU_DEP_3) | instskip(NEXT) | instid1(VALU_DEP_3)
	v_add_f32_e32 v66, v92, v66
	v_dual_mul_f32 v92, 0xbf788fa5, v34 :: v_dual_add_f32 v79, v90, v79
	v_add_f32_e32 v101, v132, v101
	v_mul_f32_e32 v90, 0xbeb58ec6, v33
	v_add_f32_e32 v46, v46, v4
	s_delay_alu instid0(VALU_DEP_4) | instskip(SKIP_1) | instid1(VALU_DEP_4)
	v_dual_mul_f32 v86, 0x3f116cb1, v32 :: v_dual_add_f32 v79, v96, v79
	v_mul_f32_e32 v96, 0x3f116cb1, v42
	v_dual_add_f32 v59, v59, v90 :: v_dual_mul_f32 v90, 0xbf3f9e67, v41
	s_delay_alu instid0(VALU_DEP_3) | instskip(NEXT) | instid1(VALU_DEP_3)
	v_dual_sub_f32 v39, v86, v39 :: v_dual_add_f32 v4, v115, v4
	v_add_f32_e32 v88, v88, v96
	v_mul_f32_e32 v96, 0xbf3f9e67, v50
	s_delay_alu instid0(VALU_DEP_4) | instskip(NEXT) | instid1(VALU_DEP_4)
	v_dual_mul_f32 v105, 0xbeb58ec6, v32 :: v_dual_sub_f32 v16, v90, v53
	v_dual_add_f32 v7, v21, v7 :: v_dual_add_f32 v4, v119, v4
	s_delay_alu instid0(VALU_DEP_3) | instskip(SKIP_3) | instid1(VALU_DEP_3)
	v_dual_add_f32 v89, v89, v96 :: v_dual_mul_f32 v96, 0xbeb58ec6, v38
	v_dual_mul_f32 v93, 0xbeb58ec6, v34 :: v_dual_add_f32 v60, v67, v60
	v_add_f32_e32 v66, v88, v66
	v_dual_sub_f32 v52, v105, v52 :: v_dual_sub_f32 v55, v92, v55
	v_sub_f32_e32 v73, v93, v73
	v_add_f32_e32 v51, v51, v91
	v_mul_f32_e32 v91, 0xbf3f9e67, v38
	s_delay_alu instid0(VALU_DEP_4) | instskip(NEXT) | instid1(VALU_DEP_3)
	v_dual_mul_f32 v93, 0x3f62ad3f, v36 :: v_dual_add_f32 v52, v52, v46
	v_dual_add_f32 v60, v73, v60 :: v_dual_add_f32 v51, v51, v5
	s_delay_alu instid0(VALU_DEP_3) | instskip(NEXT) | instid1(VALU_DEP_3)
	v_dual_mul_f32 v73, 0xbf3f9e67, v42 :: v_dual_add_f32 v64, v64, v91
	v_dual_mul_f32 v67, 0xbf3f9e67, v36 :: v_dual_sub_f32 v78, v93, v78
	v_mul_f32_e32 v93, 0x3df6dbef, v41
	s_delay_alu instid0(VALU_DEP_4) | instskip(NEXT) | instid1(VALU_DEP_3)
	v_dual_add_f32 v51, v59, v51 :: v_dual_add_f32 v46, v102, v101
	v_dual_mul_f32 v59, 0x3df6dbef, v42 :: v_dual_add_f32 v60, v78, v60
	v_dual_mul_f32 v103, 0x3f116cb1, v41 :: v_dual_add_f32 v52, v55, v52
	v_dual_sub_f32 v55, v67, v62 :: v_dual_add_f32 v20, v48, v96
	s_delay_alu instid0(VALU_DEP_3) | instskip(SKIP_2) | instid1(VALU_DEP_4)
	v_add_f32_e32 v59, v74, v59
	v_sub_f32_e32 v62, v108, v83
	v_add_f32_e32 v51, v61, v51
	v_dual_add_f32 v55, v55, v52 :: v_dual_add_f32 v52, v89, v66
	v_dual_add_f32 v66, v40, v77 :: v_dual_sub_f32 v67, v93, v68
	s_delay_alu instid0(VALU_DEP_3) | instskip(SKIP_2) | instid1(VALU_DEP_4)
	v_add_f32_e32 v51, v64, v51
	v_dual_add_f32 v7, v23, v7 :: v_dual_mul_f32 v88, 0xbeb58ec6, v36
	v_add_f32_e32 v37, v39, v37
	v_add_f32_e32 v55, v67, v55
	s_delay_alu instid0(VALU_DEP_4) | instskip(NEXT) | instid1(VALU_DEP_4)
	v_add_f32_e32 v59, v59, v51
	v_add_f32_e32 v7, v17, v7
	v_mul_f32_e32 v91, 0x3f62ad3f, v50
	v_mul_f32_e32 v61, 0x3f62ad3f, v49
	v_sub_f32_e32 v17, v88, v47
	v_add_f32_e32 v21, v45, v107
	v_add_f32_e32 v7, v19, v7
	;; [unrolled: 1-line block ×3, first 2 shown]
	v_sub_f32_e32 v75, v103, v75
	v_mul_f32_e32 v105, 0xbf788fa5, v50
	v_add_f32_e32 v45, v95, v79
	v_add_f32_e32 v7, v13, v7
	;; [unrolled: 1-line block ×4, first 2 shown]
	s_delay_alu instid0(VALU_DEP_3) | instskip(NEXT) | instid1(VALU_DEP_1)
	v_add_f32_e32 v15, v15, v7
	v_add_f32_e32 v9, v9, v15
	s_delay_alu instid0(VALU_DEP_1) | instskip(SKIP_1) | instid1(VALU_DEP_2)
	v_add_f32_e32 v9, v11, v9
	v_fma_f32 v11, 0xbf3f9e67, v35, -v114
	v_add_f32_e32 v1, v1, v9
	v_fma_f32 v9, 0x3f116cb1, v38, -v120
	v_sub_f32_e32 v39, v106, v44
	s_delay_alu instid0(VALU_DEP_3) | instskip(SKIP_1) | instid1(VALU_DEP_3)
	v_add_f32_e32 v1, v3, v1
	v_add_f32_e32 v3, v122, v4
	;; [unrolled: 1-line block ×3, first 2 shown]
	s_delay_alu instid0(VALU_DEP_3) | instskip(NEXT) | instid1(VALU_DEP_3)
	v_add_f32_e32 v1, v25, v1
	v_add_f32_e32 v3, v125, v3
	s_delay_alu instid0(VALU_DEP_3)
	v_add_f32_e32 v17, v17, v23
	v_add_f32_e32 v51, v62, v60
	v_add_f32_e32 v13, v65, v105
	v_sub_f32_e32 v60, v61, v76
	v_add_f32_e32 v8, v118, v3
	v_add_f32_e32 v16, v16, v17
	v_sub_f32_e32 v17, v104, v63
	v_add_f32_e32 v59, v66, v5
	s_delay_alu instid0(VALU_DEP_2) | instskip(NEXT) | instid1(VALU_DEP_2)
	v_dual_add_f32 v39, v60, v55 :: v_dual_add_f32 v6, v17, v16
	v_add_f32_e32 v43, v43, v59
	s_delay_alu instid0(VALU_DEP_1) | instskip(NEXT) | instid1(VALU_DEP_1)
	v_add_f32_e32 v21, v21, v43
	v_add_f32_e32 v20, v20, v21
	;; [unrolled: 1-line block ×3, first 2 shown]
	s_delay_alu instid0(VALU_DEP_1) | instskip(NEXT) | instid1(VALU_DEP_1)
	v_add_f32_e32 v19, v21, v20
	v_add_f32_e32 v7, v13, v19
	v_fma_f32 v13, 0xbf788fa5, v27, -v113
	s_delay_alu instid0(VALU_DEP_1) | instskip(SKIP_1) | instid1(VALU_DEP_1)
	v_add_f32_e32 v5, v13, v5
	v_fma_f32 v13, 0x3f62ad3f, v33, -v112
	v_add_f32_e32 v5, v13, v5
	s_delay_alu instid0(VALU_DEP_1) | instskip(NEXT) | instid1(VALU_DEP_1)
	v_add_f32_e32 v5, v11, v5
	v_add_f32_e32 v4, v9, v5
	v_fma_f32 v5, 0xbeb58ec6, v42, -v126
	s_delay_alu instid0(VALU_DEP_1) | instskip(SKIP_2) | instid1(VALU_DEP_1)
	v_add_f32_e32 v2, v5, v4
	v_and_b32_e32 v4, 0xffff, v72
	v_fma_f32 v5, 0x3df6dbef, v50, -v124
	v_dual_add_f32 v3, v5, v2 :: v_dual_lshlrev_b32 v4, 3, v4
	v_add_f32_e32 v2, v131, v8
	ds_store_2addr_b64 v4, v[0:1], v[6:7] offset1:1
	ds_store_2addr_b64 v4, v[39:40], v[51:52] offset0:2 offset1:3
	ds_store_2addr_b64 v4, v[84:85], v[81:82] offset0:4 offset1:5
	;; [unrolled: 1-line block ×5, first 2 shown]
	ds_store_b64 v4, v[57:58] offset:96
.LBB0_7:
	s_wait_alu 0xfffe
	s_or_b32 exec_lo, exec_lo, s0
	v_and_b32_e32 v0, 0xff, v71
	s_load_b128 s[4:7], s[4:5], 0x0
	global_wb scope:SCOPE_SE
	s_wait_dscnt 0x0
	s_wait_kmcnt 0x0
	s_barrier_signal -1
	s_barrier_wait -1
	v_mul_lo_u16 v0, 0x4f, v0
	global_inv scope:SCOPE_SE
	v_cmp_gt_u16_e64 s0, 26, v71
	v_lshrrev_b16 v24, 10, v0
	s_delay_alu instid0(VALU_DEP_1) | instskip(NEXT) | instid1(VALU_DEP_1)
	v_mul_lo_u16 v0, v24, 13
	v_sub_nc_u16 v0, v71, v0
	s_delay_alu instid0(VALU_DEP_1) | instskip(NEXT) | instid1(VALU_DEP_1)
	v_and_b32_e32 v40, 0xff, v0
	v_mad_co_u64_u32 v[16:17], null, 0x48, v40, s[2:3]
	s_clause 0x4
	global_load_b128 v[12:15], v[16:17], off
	global_load_b128 v[8:11], v[16:17], off offset:16
	global_load_b128 v[4:7], v[16:17], off offset:32
	;; [unrolled: 1-line block ×3, first 2 shown]
	global_load_b64 v[59:60], v[16:17], off offset:64
	ds_load_2addr_b64 v[20:23], v70 offset0:104 offset1:156
	ds_load_2addr_b64 v[16:19], v70 offset1:52
	v_and_b32_e32 v36, 0xffff, v24
	v_add_nc_u32_e32 v25, 0x400, v70
	s_wait_loadcnt_dscnt 0x401
	v_dual_mul_f32 v42, v21, v15 :: v_dual_add_nc_u32 v67, 0x800, v70
	s_wait_loadcnt 0x3
	v_mul_f32_e32 v45, v22, v9
	v_mul_u32_u24_e32 v41, 0x82, v36
	v_mul_f32_e32 v43, v20, v15
	s_delay_alu instid0(VALU_DEP_2)
	v_add_lshl_u32 v73, v41, v40, 3
	s_wait_dscnt 0x0
	v_mul_f32_e32 v40, v19, v13
	ds_load_2addr_b64 v[24:27], v25 offset0:80 offset1:132
	ds_load_2addr_b64 v[32:35], v67 offset0:56 offset1:108
	;; [unrolled: 1-line block ×3, first 2 shown]
	v_mul_f32_e32 v41, v18, v13
	v_mul_f32_e32 v44, v23, v9
	v_fma_f32 v40, v18, v12, -v40
	v_fma_f32 v18, v20, v14, -v42
	global_wb scope:SCOPE_SE
	s_wait_loadcnt_dscnt 0x0
	v_fmac_f32_e32 v41, v19, v12
	s_barrier_signal -1
	s_barrier_wait -1
	global_inv scope:SCOPE_SE
	v_fmac_f32_e32 v43, v21, v14
	v_dual_mul_f32 v46, v25, v11 :: v_dual_mul_f32 v49, v26, v5
	v_dual_mul_f32 v47, v24, v11 :: v_dual_mul_f32 v48, v27, v5
	v_mul_f32_e32 v51, v32, v7
	v_dual_mul_f32 v50, v33, v7 :: v_dual_mul_f32 v53, v34, v1
	v_dual_mul_f32 v52, v35, v1 :: v_dual_mul_f32 v55, v36, v3
	;; [unrolled: 1-line block ×3, first 2 shown]
	v_fma_f32 v20, v24, v10, -v46
	v_mul_f32_e32 v62, v38, v60
	v_fma_f32 v19, v22, v8, -v44
	v_fmac_f32_e32 v47, v25, v10
	v_fmac_f32_e32 v49, v27, v4
	v_fma_f32 v22, v32, v6, -v50
	v_fmac_f32_e32 v45, v23, v8
	v_fma_f32 v23, v34, v0, -v52
	v_fma_f32 v24, v36, v2, -v54
	v_dual_fmac_f32 v55, v37, v2 :: v_dual_sub_f32 v34, v18, v20
	v_fmac_f32_e32 v51, v33, v6
	v_fma_f32 v25, v38, v59, -v61
	v_fmac_f32_e32 v53, v35, v0
	v_fma_f32 v21, v26, v4, -v48
	v_fmac_f32_e32 v62, v39, v59
	v_add_f32_e32 v26, v16, v18
	v_dual_sub_f32 v66, v25, v23 :: v_dual_add_f32 v27, v20, v22
	v_add_f32_e32 v36, v18, v24
	v_sub_f32_e32 v32, v43, v55
	v_dual_sub_f32 v33, v47, v51 :: v_dual_sub_f32 v38, v22, v24
	v_dual_sub_f32 v35, v24, v22 :: v_dual_add_f32 v42, v47, v51
	v_dual_sub_f32 v37, v20, v18 :: v_dual_sub_f32 v18, v18, v24
	v_dual_add_f32 v39, v17, v43 :: v_dual_add_f32 v68, v19, v25
	v_sub_f32_e32 v44, v20, v22
	v_dual_sub_f32 v46, v43, v47 :: v_dual_sub_f32 v63, v45, v62
	v_add_f32_e32 v54, v40, v19
	v_dual_sub_f32 v48, v55, v51 :: v_dual_add_f32 v77, v49, v53
	v_dual_add_f32 v50, v43, v55 :: v_dual_sub_f32 v79, v45, v49
	v_dual_sub_f32 v43, v47, v43 :: v_dual_sub_f32 v64, v49, v53
	v_dual_sub_f32 v52, v51, v55 :: v_dual_add_f32 v81, v45, v62
	v_dual_add_f32 v61, v21, v23 :: v_dual_sub_f32 v80, v62, v53
	v_dual_sub_f32 v65, v19, v21 :: v_dual_sub_f32 v74, v21, v19
	v_dual_sub_f32 v75, v23, v25 :: v_dual_sub_f32 v78, v21, v23
	v_add_f32_e32 v76, v41, v45
	v_dual_sub_f32 v19, v19, v25 :: v_dual_sub_f32 v82, v53, v62
	v_dual_sub_f32 v45, v49, v45 :: v_dual_add_f32 v20, v26, v20
	v_fma_f32 v83, -0.5, v27, v16
	v_add_f32_e32 v26, v34, v35
	v_fma_f32 v35, -0.5, v36, v16
	v_dual_add_f32 v16, v37, v38 :: v_dual_add_f32 v21, v54, v21
	v_add_f32_e32 v27, v39, v47
	v_fma_f32 v36, -0.5, v42, v17
	v_dual_add_f32 v34, v46, v48 :: v_dual_add_f32 v39, v65, v66
	v_fma_f32 v37, -0.5, v50, v17
	v_fma_f32 v46, -0.5, v77, v41
	v_add_f32_e32 v17, v43, v52
	v_fma_f32 v38, -0.5, v61, v40
	v_dual_fmac_f32 v40, -0.5, v68 :: v_dual_add_f32 v43, v76, v49
	v_dual_fmac_f32 v41, -0.5, v81 :: v_dual_add_f32 v20, v20, v22
	v_dual_add_f32 v45, v45, v82 :: v_dual_fmamk_f32 v48, v32, 0x3f737871, v83
	v_dual_fmac_f32 v83, 0xbf737871, v32 :: v_dual_add_f32 v22, v27, v51
	v_dual_fmamk_f32 v49, v33, 0xbf737871, v35 :: v_dual_fmamk_f32 v50, v18, 0xbf737871, v36
	v_dual_fmac_f32 v35, 0x3f737871, v33 :: v_dual_fmac_f32 v36, 0x3f737871, v18
	v_fmamk_f32 v51, v44, 0x3f737871, v37
	v_fmac_f32_e32 v37, 0xbf737871, v44
	v_dual_add_f32 v21, v21, v23 :: v_dual_fmamk_f32 v52, v19, 0xbf737871, v46
	v_dual_add_f32 v42, v74, v75 :: v_dual_add_f32 v47, v79, v80
	v_dual_fmamk_f32 v23, v63, 0x3f737871, v38 :: v_dual_add_f32 v20, v20, v24
	v_fmac_f32_e32 v38, 0xbf737871, v63
	v_dual_fmamk_f32 v27, v64, 0xbf737871, v40 :: v_dual_add_f32 v22, v22, v55
	v_dual_fmac_f32 v40, 0x3f737871, v64 :: v_dual_add_f32 v43, v43, v53
	v_dual_fmac_f32 v46, 0x3f737871, v19 :: v_dual_fmamk_f32 v53, v78, 0x3f737871, v41
	v_dual_fmac_f32 v83, 0xbf167918, v33 :: v_dual_fmac_f32 v50, 0xbf167918, v44
	v_dual_fmac_f32 v36, 0x3f167918, v44 :: v_dual_fmac_f32 v37, 0x3f167918, v18
	;; [unrolled: 1-line block ×3, first 2 shown]
	v_add_f32_e32 v18, v21, v25
	v_dual_fmac_f32 v52, 0xbf167918, v78 :: v_dual_fmac_f32 v53, 0xbf167918, v19
	v_dual_fmac_f32 v35, 0xbf167918, v32 :: v_dual_fmac_f32 v40, 0xbf167918, v63
	v_dual_fmac_f32 v23, 0x3f167918, v64 :: v_dual_fmac_f32 v46, 0x3f167918, v78
	v_dual_add_f32 v21, v43, v62 :: v_dual_fmac_f32 v38, 0x3e9e377a, v39
	s_delay_alu instid0(VALU_DEP_4)
	v_dual_fmac_f32 v83, 0x3e9e377a, v26 :: v_dual_fmac_f32 v52, 0x3e9e377a, v47
	v_dual_fmac_f32 v48, 0x3f167918, v33 :: v_dual_fmac_f32 v49, 0x3f167918, v32
	;; [unrolled: 1-line block ×4, first 2 shown]
	v_fmac_f32_e32 v23, 0x3e9e377a, v39
	v_dual_add_f32 v17, v22, v21 :: v_dual_mul_f32 v32, 0x3f167918, v52
	v_fmac_f32_e32 v27, 0x3f167918, v63
	v_dual_fmac_f32 v48, 0x3e9e377a, v26 :: v_dual_fmac_f32 v49, 0x3e9e377a, v16
	v_dual_fmac_f32 v35, 0x3e9e377a, v16 :: v_dual_fmac_f32 v50, 0x3e9e377a, v34
	s_delay_alu instid0(VALU_DEP_4) | instskip(SKIP_4) | instid1(VALU_DEP_4)
	v_fmac_f32_e32 v32, 0x3f4f1bbd, v23
	v_fmac_f32_e32 v41, 0xbf737871, v78
	;; [unrolled: 1-line block ×3, first 2 shown]
	v_add_f32_e32 v16, v20, v18
	v_fmac_f32_e32 v27, 0x3e9e377a, v42
	v_dual_sub_f32 v18, v20, v18 :: v_dual_fmac_f32 v41, 0x3f167918, v19
	s_delay_alu instid0(VALU_DEP_4) | instskip(SKIP_1) | instid1(VALU_DEP_3)
	v_dual_sub_f32 v19, v22, v21 :: v_dual_mul_f32 v24, 0x3f4f1bbd, v46
	v_mul_f32_e32 v21, 0x3f4f1bbd, v38
	v_dual_mul_f32 v20, 0x3e9e377a, v40 :: v_dual_fmac_f32 v41, 0x3e9e377a, v45
	s_delay_alu instid0(VALU_DEP_3) | instskip(NEXT) | instid1(VALU_DEP_3)
	v_fma_f32 v38, 0xbf167918, v38, -v24
	v_fma_f32 v42, 0x3f167918, v46, -v21
	s_delay_alu instid0(VALU_DEP_1) | instskip(NEXT) | instid1(VALU_DEP_1)
	v_dual_fmac_f32 v53, 0x3e9e377a, v45 :: v_dual_add_f32 v26, v83, v42
	v_dual_mul_f32 v33, 0x3f737871, v53 :: v_dual_sub_f32 v42, v83, v42
	v_mul_f32_e32 v22, 0x3e9e377a, v41
	v_fma_f32 v41, 0x3f737871, v41, -v20
	v_mul_f32_e32 v39, 0xbf167918, v23
	s_delay_alu instid0(VALU_DEP_4) | instskip(SKIP_2) | instid1(VALU_DEP_4)
	v_fmac_f32_e32 v33, 0x3e9e377a, v27
	v_mul_f32_e32 v43, 0xbf737871, v27
	v_fma_f32 v44, 0xbf737871, v40, -v22
	v_dual_add_f32 v24, v35, v41 :: v_dual_fmac_f32 v39, 0x3f4f1bbd, v52
	s_delay_alu instid0(VALU_DEP_4) | instskip(NEXT) | instid1(VALU_DEP_4)
	v_sub_f32_e32 v34, v49, v33
	v_dual_fmac_f32 v43, 0x3e9e377a, v53 :: v_dual_add_f32 v20, v48, v32
	s_delay_alu instid0(VALU_DEP_3) | instskip(SKIP_1) | instid1(VALU_DEP_3)
	v_dual_add_f32 v22, v49, v33 :: v_dual_add_f32 v21, v50, v39
	v_sub_f32_e32 v40, v35, v41
	v_add_f32_e32 v23, v51, v43
	v_add_f32_e32 v25, v37, v44
	;; [unrolled: 1-line block ×3, first 2 shown]
	v_dual_sub_f32 v32, v48, v32 :: v_dual_sub_f32 v33, v50, v39
	v_sub_f32_e32 v35, v51, v43
	v_sub_f32_e32 v41, v37, v44
	;; [unrolled: 1-line block ×3, first 2 shown]
	ds_store_2addr_b64 v73, v[16:17], v[20:21] offset1:13
	ds_store_2addr_b64 v73, v[22:23], v[24:25] offset0:26 offset1:39
	ds_store_2addr_b64 v73, v[26:27], v[18:19] offset0:52 offset1:65
	ds_store_2addr_b64 v73, v[32:33], v[34:35] offset0:78 offset1:91
	ds_store_2addr_b64 v73, v[40:41], v[42:43] offset0:104 offset1:117
	global_wb scope:SCOPE_SE
	s_wait_dscnt 0x0
	s_barrier_signal -1
	s_barrier_wait -1
	global_inv scope:SCOPE_SE
	ds_load_2addr_b64 v[32:35], v70 offset1:52
	ds_load_2addr_b64 v[36:39], v70 offset0:130 offset1:182
	ds_load_2addr_b64 v[44:47], v67 offset0:4 offset1:56
	;; [unrolled: 1-line block ×3, first 2 shown]
	s_and_saveexec_b32 s1, s0
	s_cbranch_execz .LBB0_9
; %bb.8:
	ds_load_2addr_b64 v[40:43], v70 offset0:104 offset1:234
	ds_load_2addr_b64 v[28:31], v67 offset0:108 offset1:238
.LBB0_9:
	s_wait_alu 0xfffe
	s_or_b32 exec_lo, exec_lo, s1
	v_mad_co_u64_u32 v[16:17], null, v71, 24, s[2:3]
	s_clause 0x3
	global_load_b128 v[24:27], v[16:17], off offset:936
	global_load_b64 v[65:66], v[16:17], off offset:952
	global_load_b128 v[20:23], v[16:17], off offset:2184
	global_load_b64 v[63:64], v[16:17], off offset:2200
	v_add_nc_u32_e32 v16, 0x68, v71
	v_subrev_nc_u32_e32 v17, 26, v71
	s_delay_alu instid0(VALU_DEP_1) | instskip(NEXT) | instid1(VALU_DEP_1)
	v_cndmask_b32_e64 v16, v17, v16, s0
	v_mul_i32_i24_e32 v17, 24, v16
	v_mul_hi_i32_i24_e32 v16, 24, v16
	s_delay_alu instid0(VALU_DEP_2) | instskip(SKIP_1) | instid1(VALU_DEP_2)
	v_add_co_u32 v52, s1, s2, v17
	s_wait_alu 0xf1ff
	v_add_co_ci_u32_e64 v53, s1, s3, v16, s1
	s_clause 0x1
	global_load_b128 v[16:19], v[52:53], off offset:936
	global_load_b64 v[61:62], v[52:53], off offset:952
	s_wait_loadcnt_dscnt 0x502
	v_mul_f32_e32 v53, v36, v25
	s_wait_dscnt 0x1
	v_dual_mul_f32 v52, v37, v25 :: v_dual_mul_f32 v55, v44, v27
	s_wait_loadcnt 0x3
	v_dual_mul_f32 v54, v45, v27 :: v_dual_mul_f32 v75, v39, v21
	s_wait_dscnt 0x0
	v_dual_mul_f32 v68, v49, v66 :: v_dual_mul_f32 v77, v47, v23
	s_wait_loadcnt 0x2
	v_dual_mul_f32 v74, v48, v66 :: v_dual_mul_f32 v79, v51, v64
	v_dual_mul_f32 v76, v38, v21 :: v_dual_fmac_f32 v53, v37, v24
	v_dual_mul_f32 v78, v46, v23 :: v_dual_fmac_f32 v55, v45, v26
	v_fma_f32 v36, v36, v24, -v52
	v_fma_f32 v37, v44, v26, -v54
	v_mul_f32_e32 v80, v50, v64
	v_fma_f32 v44, v48, v65, -v68
	v_fma_f32 v38, v38, v20, -v75
	;; [unrolled: 1-line block ×3, first 2 shown]
	v_dual_sub_f32 v37, v32, v37 :: v_dual_fmac_f32 v76, v39, v20
	v_fma_f32 v39, v46, v22, -v77
	v_fmac_f32_e32 v74, v49, v65
	v_sub_f32_e32 v48, v33, v55
	v_sub_f32_e32 v44, v36, v44
	v_fma_f32 v32, v32, 2.0, -v37
	v_sub_f32_e32 v49, v34, v39
	s_wait_loadcnt 0x0
	v_mul_f32_e32 v55, v31, v62
	v_fmac_f32_e32 v80, v51, v63
	v_dual_fmac_f32 v78, v47, v22 :: v_dual_sub_f32 v39, v38, v45
	v_mul_f32_e32 v51, v43, v17
	v_fma_f32 v33, v33, 2.0, -v48
	v_add_f32_e32 v47, v48, v44
	s_delay_alu instid0(VALU_DEP_4)
	v_dual_sub_f32 v45, v76, v80 :: v_dual_sub_f32 v50, v35, v78
	v_sub_f32_e32 v46, v53, v74
	v_mul_f32_e32 v68, v28, v19
	v_mul_f32_e32 v74, v30, v62
	v_fma_f32 v78, v38, 2.0, -v39
	v_add_f32_e32 v39, v50, v39
	v_fma_f32 v53, v53, 2.0, -v46
	v_fma_f32 v76, v76, 2.0, -v45
	v_fmac_f32_e32 v68, v29, v18
	v_fmac_f32_e32 v74, v31, v61
	v_sub_f32_e32 v38, v49, v45
	v_sub_f32_e32 v45, v33, v53
	v_fma_f32 v77, v35, 2.0, -v50
	v_mul_f32_e32 v52, v42, v17
	v_fma_f32 v42, v42, v16, -v51
	v_mul_f32_e32 v54, v29, v19
	v_fma_f32 v29, v30, v61, -v55
	v_sub_f32_e32 v30, v41, v68
	v_fma_f32 v75, v34, 2.0, -v49
	v_fma_f32 v36, v36, 2.0, -v44
	;; [unrolled: 1-line block ×3, first 2 shown]
	v_dual_sub_f32 v29, v42, v29 :: v_dual_sub_f32 v46, v37, v46
	v_fma_f32 v28, v28, v18, -v54
	s_delay_alu instid0(VALU_DEP_4)
	v_sub_f32_e32 v44, v32, v36
	v_sub_f32_e32 v36, v75, v78
	v_fma_f32 v55, v50, 2.0, -v39
	v_fma_f32 v34, v37, 2.0, -v46
	v_sub_f32_e32 v37, v77, v76
	v_dual_fmac_f32 v52, v43, v16 :: v_dual_add_f32 v43, v30, v29
	v_sub_f32_e32 v28, v40, v28
	v_fma_f32 v32, v32, 2.0, -v44
	v_fma_f32 v33, v33, 2.0, -v45
	s_delay_alu instid0(VALU_DEP_4)
	v_sub_f32_e32 v31, v52, v74
	v_fma_f32 v54, v49, 2.0, -v38
	v_fma_f32 v48, v40, 2.0, -v28
	;; [unrolled: 1-line block ×5, first 2 shown]
	v_sub_f32_e32 v42, v28, v31
	v_fma_f32 v52, v75, 2.0, -v36
	v_fma_f32 v53, v77, 2.0, -v37
	s_delay_alu instid0(VALU_DEP_4) | instskip(NEXT) | instid1(VALU_DEP_4)
	v_dual_sub_f32 v40, v48, v40 :: v_dual_sub_f32 v41, v49, v41
	v_fma_f32 v50, v28, 2.0, -v42
	v_fma_f32 v51, v30, 2.0, -v43
	ds_store_2addr_b64 v70, v[32:33], v[52:53] offset1:52
	ds_store_2addr_b64 v70, v[34:35], v[54:55] offset0:130 offset1:182
	ds_store_2addr_b64 v67, v[44:45], v[36:37] offset0:4 offset1:56
	ds_store_2addr_b64 v67, v[46:47], v[38:39] offset0:134 offset1:186
	v_fma_f32 v48, v48, 2.0, -v40
	v_fma_f32 v49, v49, 2.0, -v41
	s_and_saveexec_b32 s1, s0
	s_cbranch_execz .LBB0_11
; %bb.10:
	v_add_nc_u32_e32 v28, 0x800, v70
	ds_store_2addr_b64 v70, v[48:49], v[50:51] offset0:104 offset1:234
	ds_store_2addr_b64 v28, v[40:41], v[42:43] offset0:108 offset1:238
.LBB0_11:
	s_wait_alu 0xfffe
	s_or_b32 exec_lo, exec_lo, s1
	global_wb scope:SCOPE_SE
	s_wait_dscnt 0x0
	s_barrier_signal -1
	s_barrier_wait -1
	global_inv scope:SCOPE_SE
	s_and_saveexec_b32 s1, vcc_lo
	s_cbranch_execz .LBB0_13
; %bb.12:
	global_load_b64 v[28:29], v70, s[12:13] offset:4160
	s_add_nc_u64 s[2:3], s[12:13], 0x1040
	s_clause 0xb
	global_load_b64 v[67:68], v70, s[2:3] offset:320
	global_load_b64 v[94:95], v70, s[2:3] offset:640
	;; [unrolled: 1-line block ×12, first 2 shown]
	ds_load_b64 v[30:31], v70
	s_wait_loadcnt_dscnt 0xc00
	v_dual_mul_f32 v74, v31, v29 :: v_dual_add_nc_u32 v117, 0x800, v70
	v_mul_f32_e32 v75, v30, v29
	s_delay_alu instid0(VALU_DEP_2) | instskip(NEXT) | instid1(VALU_DEP_2)
	v_fma_f32 v74, v30, v28, -v74
	v_fmac_f32_e32 v75, v31, v28
	ds_store_b64 v70, v[74:75]
	ds_load_2addr_b64 v[28:31], v70 offset0:40 offset1:80
	ds_load_2addr_b64 v[74:77], v70 offset0:120 offset1:160
	;; [unrolled: 1-line block ×6, first 2 shown]
	s_wait_loadcnt_dscnt 0x502
	v_dual_mul_f32 v123, v81, v103 :: v_dual_mul_f32 v124, v83, v105
	v_mul_f32_e32 v118, v29, v68
	v_dual_mul_f32 v116, v28, v68 :: v_dual_mul_f32 v119, v31, v95
	v_mul_f32_e32 v68, v30, v95
	v_dual_mul_f32 v120, v75, v97 :: v_dual_mul_f32 v121, v77, v99
	s_delay_alu instid0(VALU_DEP_3) | instskip(SKIP_1) | instid1(VALU_DEP_4)
	v_dual_mul_f32 v95, v74, v97 :: v_dual_fmac_f32 v116, v29, v67
	v_dual_mul_f32 v97, v76, v99 :: v_dual_mul_f32 v122, v79, v101
	v_dual_mul_f32 v99, v78, v101 :: v_dual_fmac_f32 v68, v31, v94
	s_wait_loadcnt_dscnt 0x301
	v_dual_mul_f32 v101, v80, v103 :: v_dual_mul_f32 v126, v87, v109
	v_mul_f32_e32 v103, v82, v105
	s_wait_loadcnt_dscnt 0x100
	v_dual_mul_f32 v125, v85, v107 :: v_dual_mul_f32 v128, v91, v113
	v_mul_f32_e32 v105, v84, v107
	v_mul_f32_e32 v107, v86, v109
	;; [unrolled: 1-line block ×5, first 2 shown]
	s_wait_loadcnt 0x0
	v_mul_f32_e32 v129, v93, v115
	v_mul_f32_e32 v113, v92, v115
	v_fma_f32 v115, v28, v67, -v118
	v_fma_f32 v67, v30, v94, -v119
	;; [unrolled: 1-line block ×3, first 2 shown]
	v_fmac_f32_e32 v95, v75, v96
	v_fma_f32 v96, v76, v98, -v121
	v_fmac_f32_e32 v97, v77, v98
	v_fma_f32 v98, v78, v100, -v122
	;; [unrolled: 2-line block ×9, first 2 shown]
	v_fmac_f32_e32 v113, v93, v114
	ds_store_2addr_b64 v70, v[115:116], v[67:68] offset0:40 offset1:80
	ds_store_2addr_b64 v70, v[94:95], v[96:97] offset0:120 offset1:160
	;; [unrolled: 1-line block ×6, first 2 shown]
.LBB0_13:
	s_wait_alu 0xfffe
	s_or_b32 exec_lo, exec_lo, s1
	global_wb scope:SCOPE_SE
	s_wait_dscnt 0x0
	s_barrier_signal -1
	s_barrier_wait -1
	global_inv scope:SCOPE_SE
	s_and_saveexec_b32 s1, vcc_lo
	s_cbranch_execz .LBB0_15
; %bb.14:
	v_add_nc_u32_e32 v28, 0x400, v70
	v_add_nc_u32_e32 v29, 0x800, v70
	ds_load_2addr_b64 v[32:35], v70 offset1:40
	ds_load_2addr_b64 v[44:47], v70 offset0:80 offset1:120
	ds_load_2addr_b64 v[52:55], v70 offset0:160 offset1:200
	;; [unrolled: 1-line block ×5, first 2 shown]
	ds_load_b64 v[57:58], v70 offset:3840
.LBB0_15:
	s_wait_alu 0xfffe
	s_or_b32 exec_lo, exec_lo, s1
	s_wait_dscnt 0x0
	v_dual_sub_f32 v84, v35, v58 :: v_dual_add_f32 v91, v58, v35
	v_dual_add_f32 v74, v57, v34 :: v_dual_add_f32 v75, v42, v44
	v_dual_sub_f32 v76, v34, v57 :: v_dual_sub_f32 v87, v45, v43
	s_delay_alu instid0(VALU_DEP_3) | instskip(NEXT) | instid1(VALU_DEP_4)
	v_mul_f32_e32 v98, 0x3f116cb1, v91
	v_mul_f32_e32 v94, 0xbf52af12, v84
	v_dual_add_f32 v92, v43, v45 :: v_dual_mul_f32 v105, 0xbf7e222b, v84
	v_dual_mul_f32 v108, 0x3df6dbef, v91 :: v_dual_sub_f32 v77, v44, v42
	s_delay_alu instid0(VALU_DEP_4) | instskip(NEXT) | instid1(VALU_DEP_4)
	v_fmamk_f32 v29, v76, 0xbf52af12, v98
	v_fma_f32 v28, 0x3f116cb1, v74, -v94
	s_delay_alu instid0(VALU_DEP_4) | instskip(SKIP_4) | instid1(VALU_DEP_4)
	v_dual_mul_f32 v102, 0xbeb58ec6, v92 :: v_dual_add_f32 v95, v41, v47
	v_mul_f32_e32 v96, 0xbf6f5d39, v87
	v_dual_sub_f32 v88, v47, v41 :: v_dual_sub_f32 v79, v46, v40
	v_add_f32_e32 v29, v33, v29
	v_fma_f32 v30, 0x3df6dbef, v74, -v105
	v_fma_f32 v67, 0xbeb58ec6, v75, -v96
	v_fmamk_f32 v31, v76, 0xbf7e222b, v108
	v_add_f32_e32 v28, v32, v28
	v_dual_add_f32 v78, v40, v46 :: v_dual_mul_f32 v101, 0xbe750f2a, v88
	v_dual_add_f32 v30, v32, v30 :: v_dual_mul_f32 v109, 0xbe750f2a, v87
	s_delay_alu instid0(VALU_DEP_3) | instskip(SKIP_4) | instid1(VALU_DEP_3)
	v_dual_add_f32 v31, v33, v31 :: v_dual_add_f32 v28, v67, v28
	v_fmamk_f32 v67, v77, 0xbf6f5d39, v102
	v_mul_f32_e32 v112, 0xbf788fa5, v92
	v_fma_f32 v81, 0xbf788fa5, v78, -v101
	v_dual_sub_f32 v89, v53, v51 :: v_dual_add_f32 v100, v51, v53
	v_dual_add_f32 v29, v67, v29 :: v_dual_fmamk_f32 v80, v77, 0xbe750f2a, v112
	v_fma_f32 v68, 0xbf788fa5, v75, -v109
	v_mul_f32_e32 v104, 0xbf788fa5, v95
	v_dual_add_f32 v28, v81, v28 :: v_dual_mul_f32 v117, 0xbeb58ec6, v95
	v_mul_f32_e32 v103, 0x3f29c268, v89
	v_sub_f32_e32 v81, v52, v50
	v_dual_add_f32 v31, v80, v31 :: v_dual_mul_f32 v114, 0x3f6f5d39, v88
	v_add_f32_e32 v80, v50, v52
	v_dual_add_f32 v30, v68, v30 :: v_dual_fmamk_f32 v67, v79, 0xbe750f2a, v104
	v_dual_fmamk_f32 v82, v79, 0x3f6f5d39, v117 :: v_dual_add_f32 v97, v49, v55
	v_mul_f32_e32 v106, 0xbf3f9e67, v100
	s_delay_alu instid0(VALU_DEP_4) | instskip(SKIP_1) | instid1(VALU_DEP_4)
	v_fma_f32 v83, 0xbf3f9e67, v80, -v103
	v_fma_f32 v68, 0xbeb58ec6, v78, -v114
	v_add_f32_e32 v31, v82, v31
	v_add_f32_e32 v29, v67, v29
	s_delay_alu instid0(VALU_DEP_4) | instskip(NEXT) | instid1(VALU_DEP_4)
	v_dual_fmamk_f32 v67, v81, 0x3f29c268, v106 :: v_dual_add_f32 v28, v83, v28
	v_dual_mul_f32 v115, 0x3eedf032, v89 :: v_dual_add_f32 v30, v68, v30
	v_dual_sub_f32 v83, v54, v48 :: v_dual_mul_f32 v110, 0x3df6dbef, v97
	s_delay_alu instid0(VALU_DEP_3) | instskip(NEXT) | instid1(VALU_DEP_3)
	v_dual_add_f32 v29, v67, v29 :: v_dual_add_f32 v82, v48, v54
	v_fma_f32 v67, 0x3f62ad3f, v80, -v115
	v_dual_sub_f32 v90, v55, v49 :: v_dual_mul_f32 v119, 0x3f62ad3f, v100
	v_sub_f32_e32 v93, v37, v39
	global_wb scope:SCOPE_SE
	v_add_f32_e32 v30, v67, v30
	v_fmamk_f32 v67, v83, 0x3f7e222b, v110
	v_mul_f32_e32 v107, 0x3f7e222b, v90
	v_fmamk_f32 v68, v81, 0x3eedf032, v119
	s_barrier_signal -1
	s_barrier_wait -1
	v_dual_add_f32 v29, v67, v29 :: v_dual_mul_f32 v116, 0xbf52af12, v90
	s_delay_alu instid0(VALU_DEP_2)
	v_add_f32_e32 v31, v68, v31
	v_fma_f32 v85, 0x3df6dbef, v82, -v107
	global_inv scope:SCOPE_SE
	v_fma_f32 v86, 0x3f116cb1, v82, -v116
	v_mul_f32_e32 v120, 0x3f116cb1, v97
	v_add_f32_e32 v28, v85, v28
	v_add_f32_e32 v85, v38, v36
	v_mul_f32_e32 v111, 0x3eedf032, v93
	s_delay_alu instid0(VALU_DEP_4) | instskip(SKIP_1) | instid1(VALU_DEP_2)
	v_dual_add_f32 v67, v86, v30 :: v_dual_fmamk_f32 v30, v83, 0xbf52af12, v120
	v_dual_add_f32 v99, v39, v37 :: v_dual_sub_f32 v86, v36, v38
	v_add_f32_e32 v68, v30, v31
	s_delay_alu instid0(VALU_DEP_2) | instskip(SKIP_3) | instid1(VALU_DEP_4)
	v_mul_f32_e32 v113, 0x3f62ad3f, v99
	v_mul_f32_e32 v121, 0xbf3f9e67, v99
	;; [unrolled: 1-line block ×3, first 2 shown]
	v_fma_f32 v30, 0x3f62ad3f, v85, -v111
	v_fmamk_f32 v31, v86, 0x3eedf032, v113
	s_delay_alu instid0(VALU_DEP_4) | instskip(NEXT) | instid1(VALU_DEP_4)
	v_fmamk_f32 v123, v86, 0xbf29c268, v121
	v_fma_f32 v122, 0xbf3f9e67, v85, -v118
	s_delay_alu instid0(VALU_DEP_3) | instskip(NEXT) | instid1(VALU_DEP_2)
	v_dual_add_f32 v30, v30, v28 :: v_dual_add_f32 v31, v31, v29
	v_dual_add_f32 v29, v123, v68 :: v_dual_add_f32 v28, v122, v67
	s_and_saveexec_b32 s1, vcc_lo
	s_cbranch_execz .LBB0_17
; %bb.16:
	v_mul_f32_e32 v144, 0xbf6f5d39, v84
	v_mul_f32_e32 v147, 0x3f29c268, v87
	v_dual_mul_f32 v149, 0x3eedf032, v88 :: v_dual_mul_f32 v174, 0x3eedf032, v87
	v_mul_f32_e32 v151, 0xbf7e222b, v89
	s_delay_alu instid0(VALU_DEP_4) | instskip(SKIP_3) | instid1(VALU_DEP_4)
	v_fma_f32 v122, 0xbeb58ec6, v74, -v144
	v_mul_f32_e32 v131, 0xbf52af12, v76
	v_fma_f32 v123, 0xbf3f9e67, v75, -v147
	v_dual_mul_f32 v133, 0xbf6f5d39, v77 :: v_dual_mul_f32 v126, 0xbf6f5d39, v76
	v_dual_add_f32 v122, v32, v122 :: v_dual_mul_f32 v135, 0xbe750f2a, v77
	v_dual_mul_f32 v150, 0x3e750f2a, v83 :: v_dual_mul_f32 v153, 0x3e750f2a, v90
	s_delay_alu instid0(VALU_DEP_3) | instskip(NEXT) | instid1(VALU_DEP_3)
	v_dual_mul_f32 v132, 0xbeb58ec6, v75 :: v_dual_fmamk_f32 v67, v91, 0xbeb58ec6, v126
	v_add_f32_e32 v122, v123, v122
	v_fma_f32 v123, 0x3f62ad3f, v78, -v149
	v_mul_f32_e32 v137, 0xbe750f2a, v79
	s_delay_alu instid0(VALU_DEP_4) | instskip(NEXT) | instid1(VALU_DEP_3)
	v_dual_mul_f32 v130, 0x3f116cb1, v74 :: v_dual_add_f32 v67, v33, v67
	v_dual_mul_f32 v145, 0x3eedf032, v79 :: v_dual_add_f32 v122, v123, v122
	v_fma_f32 v123, 0x3df6dbef, v80, -v151
	v_mul_f32_e32 v139, 0x3f6f5d39, v79
	v_dual_mul_f32 v152, 0x3f52af12, v86 :: v_dual_mul_f32 v155, 0x3f52af12, v93
	v_mul_f32_e32 v124, 0xbf29c268, v76
	s_delay_alu instid0(VALU_DEP_4) | instskip(SKIP_4) | instid1(VALU_DEP_4)
	v_add_f32_e32 v122, v123, v122
	v_fma_f32 v123, 0xbf788fa5, v82, -v153
	v_mul_f32_e32 v127, 0x3f29c268, v77
	v_mul_f32_e32 v156, 0xbf29c268, v84
	v_dual_mul_f32 v129, 0xbf7e222b, v76 :: v_dual_mul_f32 v148, 0xbf7e222b, v81
	v_add_f32_e32 v122, v123, v122
	s_delay_alu instid0(VALU_DEP_4)
	v_fmamk_f32 v68, v92, 0xbf3f9e67, v127
	v_mul_f32_e32 v128, 0x3df6dbef, v74
	v_fma_f32 v158, 0x3f116cb1, v85, -v155
	v_fma_f32 v159, 0xbf3f9e67, v74, -v156
	v_mul_f32_e32 v160, 0x3f7e222b, v87
	v_dual_add_f32 v67, v68, v67 :: v_dual_fmamk_f32 v68, v95, 0x3f62ad3f, v145
	v_mul_f32_e32 v175, 0x3f116cb1, v100
	v_mul_f32_e32 v157, 0xbf52af12, v79
	v_dual_add_f32 v159, v32, v159 :: v_dual_mul_f32 v136, 0xbf788fa5, v78
	s_delay_alu instid0(VALU_DEP_4) | instskip(SKIP_3) | instid1(VALU_DEP_3)
	v_add_f32_e32 v67, v68, v67
	v_fmamk_f32 v68, v100, 0x3df6dbef, v148
	v_fma_f32 v162, 0x3df6dbef, v75, -v160
	v_dual_fmamk_f32 v178, v81, 0xbf52af12, v175 :: v_dual_mul_f32 v163, 0xbf52af12, v88
	v_dual_mul_f32 v138, 0xbeb58ec6, v78 :: v_dual_add_f32 v67, v68, v67
	s_delay_alu instid0(VALU_DEP_3) | instskip(SKIP_1) | instid1(VALU_DEP_4)
	v_dual_fmamk_f32 v68, v97, 0xbf788fa5, v150 :: v_dual_add_f32 v159, v162, v159
	v_dual_mul_f32 v154, 0x3f7e222b, v83 :: v_dual_mul_f32 v125, 0x3f7e222b, v77
	v_fma_f32 v162, 0x3f116cb1, v78, -v163
	v_mul_f32_e32 v165, 0x3e750f2a, v89
	s_delay_alu instid0(VALU_DEP_4) | instskip(NEXT) | instid1(VALU_DEP_4)
	v_dual_mul_f32 v140, 0xbf3f9e67, v80 :: v_dual_add_f32 v67, v68, v67
	v_dual_mul_f32 v146, 0x3df6dbef, v82 :: v_dual_fmamk_f32 v123, v92, 0x3df6dbef, v125
	s_delay_alu instid0(VALU_DEP_4) | instskip(NEXT) | instid1(VALU_DEP_4)
	v_dual_fmamk_f32 v68, v99, 0x3f116cb1, v152 :: v_dual_add_f32 v159, v162, v159
	v_fma_f32 v162, 0xbf788fa5, v80, -v165
	v_fma_f32 v125, 0x3df6dbef, v92, -v125
	v_mul_f32_e32 v167, 0x3eedf032, v90
	s_delay_alu instid0(VALU_DEP_4) | instskip(SKIP_2) | instid1(VALU_DEP_4)
	v_dual_mul_f32 v141, 0x3f29c268, v81 :: v_dual_add_f32 v68, v68, v67
	v_fmamk_f32 v67, v91, 0xbf3f9e67, v124
	v_dual_mul_f32 v166, 0xbf6f5d39, v86 :: v_dual_add_f32 v159, v162, v159
	v_fma_f32 v162, 0x3f62ad3f, v82, -v167
	s_delay_alu instid0(VALU_DEP_3) | instskip(NEXT) | instid1(VALU_DEP_3)
	v_dual_mul_f32 v142, 0x3f62ad3f, v80 :: v_dual_add_f32 v67, v33, v67
	v_fmamk_f32 v168, v99, 0xbeb58ec6, v166
	v_mul_f32_e32 v169, 0xbf788fa5, v91
	s_delay_alu instid0(VALU_DEP_4) | instskip(NEXT) | instid1(VALU_DEP_4)
	v_dual_add_f32 v159, v162, v159 :: v_dual_mul_f32 v162, 0xbf6f5d39, v93
	v_add_f32_e32 v67, v123, v67
	v_mul_f32_e32 v161, 0x3e750f2a, v81
	v_mul_f32_e32 v134, 0xbf788fa5, v75
	v_dual_mul_f32 v143, 0x3eedf032, v81 :: v_dual_mul_f32 v164, 0x3eedf032, v83
	v_fma_f32 v172, 0xbeb58ec6, v85, -v162
	v_fmamk_f32 v123, v95, 0x3f116cb1, v157
	v_fma_f32 v126, 0xbeb58ec6, v91, -v126
	v_mul_f32_e32 v177, 0xbf29c268, v88
	v_fmamk_f32 v176, v75, 0x3f62ad3f, v174
	v_dual_fmac_f32 v144, 0xbeb58ec6, v74 :: v_dual_add_f32 v105, v128, v105
	v_add_f32_e32 v67, v123, v67
	v_dual_fmamk_f32 v123, v100, 0xbf788fa5, v161 :: v_dual_add_f32 v126, v33, v126
	v_dual_mul_f32 v171, 0xbf3f9e67, v95 :: v_dual_sub_f32 v108, v108, v129
	v_fma_f32 v127, 0xbf3f9e67, v92, -v127
	s_delay_alu instid0(VALU_DEP_3)
	v_add_f32_e32 v67, v123, v67
	v_fmamk_f32 v123, v97, 0x3f62ad3f, v164
	v_fma_f32 v124, 0xbf3f9e67, v91, -v124
	v_fma_f32 v164, 0x3f62ad3f, v97, -v164
	;; [unrolled: 1-line block ×3, first 2 shown]
	v_dual_add_f32 v108, v33, v108 :: v_dual_add_f32 v109, v134, v109
	v_dual_add_f32 v123, v123, v67 :: v_dual_fmac_f32 v156, 0xbf3f9e67, v74
	v_dual_add_f32 v67, v158, v122 :: v_dual_mul_f32 v158, 0x3f62ad3f, v92
	v_fmac_f32_e32 v160, 0x3df6dbef, v75
	s_delay_alu instid0(VALU_DEP_3) | instskip(NEXT) | instid1(VALU_DEP_4)
	v_dual_add_f32 v123, v168, v123 :: v_dual_mul_f32 v168, 0xbe750f2a, v84
	v_add_f32_e32 v156, v32, v156
	v_fmamk_f32 v122, v76, 0x3e750f2a, v169
	v_add_f32_e32 v124, v33, v124
	v_fmac_f32_e32 v165, 0xbf788fa5, v80
	v_fmamk_f32 v173, v74, 0xbf788fa5, v168
	v_fmamk_f32 v170, v77, 0xbeedf032, v158
	v_add_f32_e32 v122, v33, v122
	v_add_f32_e32 v156, v160, v156
	s_delay_alu instid0(VALU_DEP_4) | instskip(SKIP_1) | instid1(VALU_DEP_4)
	v_dual_add_f32 v124, v125, v124 :: v_dual_add_f32 v173, v32, v173
	v_fma_f32 v125, 0x3f116cb1, v95, -v157
	v_add_f32_e32 v122, v170, v122
	v_fmamk_f32 v170, v79, 0x3f29c268, v171
	v_mul_f32_e32 v180, 0x3df6dbef, v99
	v_add_f32_e32 v144, v32, v144
	v_add_f32_e32 v126, v127, v126
	v_fma_f32 v145, 0x3f62ad3f, v95, -v145
	v_add_f32_e32 v170, v170, v122
	v_add_f32_e32 v122, v172, v159
	;; [unrolled: 1-line block ×3, first 2 shown]
	v_mul_f32_e32 v173, 0x3f52af12, v89
	v_fmamk_f32 v172, v78, 0xbf3f9e67, v177
	v_add_f32_e32 v170, v178, v170
	v_mul_f32_e32 v176, 0xbeb58ec6, v97
	v_fmac_f32_e32 v163, 0x3f116cb1, v78
	v_mul_f32_e32 v181, 0x3f7e222b, v93
	v_add_f32_e32 v159, v172, v159
	v_fmamk_f32 v172, v80, 0x3f116cb1, v173
	s_delay_alu instid0(VALU_DEP_4) | instskip(SKIP_2) | instid1(VALU_DEP_3)
	v_dual_fmac_f32 v147, 0xbf3f9e67, v75 :: v_dual_add_f32 v156, v163, v156
	v_fmamk_f32 v179, v83, 0x3f6f5d39, v176
	v_fmac_f32_e32 v167, 0x3f62ad3f, v82
	v_dual_add_f32 v159, v172, v159 :: v_dual_add_f32 v144, v147, v144
	s_delay_alu instid0(VALU_DEP_3)
	v_dual_add_f32 v156, v165, v156 :: v_dual_add_f32 v157, v179, v170
	v_dual_add_f32 v179, v125, v124 :: v_dual_fmamk_f32 v170, v86, 0xbf7e222b, v180
	v_mul_f32_e32 v178, 0xbf6f5d39, v90
	v_mul_f32_e32 v182, 0x3f116cb1, v82
	v_add_f32_e32 v126, v145, v126
	v_fma_f32 v145, 0x3df6dbef, v100, -v148
	v_add_f32_e32 v125, v170, v157
	v_fma_f32 v157, 0xbf788fa5, v100, -v161
	v_fmamk_f32 v172, v82, 0xbeb58ec6, v178
	v_dual_mul_f32 v161, 0x3f62ad3f, v85 :: v_dual_add_f32 v148, v167, v156
	v_fmac_f32_e32 v149, 0x3f62ad3f, v78
	s_delay_alu instid0(VALU_DEP_4) | instskip(NEXT) | instid1(VALU_DEP_4)
	v_add_f32_e32 v157, v157, v179
	v_dual_add_f32 v159, v172, v159 :: v_dual_fmac_f32 v162, 0xbeb58ec6, v85
	v_dual_fmac_f32 v151, 0x3df6dbef, v80 :: v_dual_sub_f32 v112, v112, v135
	s_delay_alu instid0(VALU_DEP_3) | instskip(SKIP_2) | instid1(VALU_DEP_3)
	v_dual_add_f32 v157, v164, v157 :: v_dual_fmamk_f32 v172, v85, 0x3df6dbef, v181
	v_dual_add_f32 v144, v149, v144 :: v_dual_add_f32 v105, v32, v105
	v_add_f32_e32 v145, v145, v126
	v_dual_add_f32 v127, v166, v157 :: v_dual_add_f32 v124, v172, v159
	s_delay_alu instid0(VALU_DEP_3)
	v_dual_mul_f32 v159, 0xbf52af12, v83 :: v_dual_add_f32 v128, v151, v144
	v_fmac_f32_e32 v155, 0x3f116cb1, v85
	v_dual_fmac_f32 v153, 0xbf788fa5, v82 :: v_dual_add_f32 v108, v112, v108
	v_add_f32_e32 v105, v109, v105
	v_add_f32_e32 v109, v138, v114
	;; [unrolled: 1-line block ×3, first 2 shown]
	v_mul_f32_e32 v164, 0xbf3f9e67, v85
	v_sub_f32_e32 v112, v117, v139
	v_dual_add_f32 v117, v153, v128 :: v_dual_sub_f32 v98, v98, v131
	v_add_f32_e32 v105, v109, v105
	v_add_f32_e32 v109, v142, v115
	;; [unrolled: 1-line block ×3, first 2 shown]
	s_delay_alu instid0(VALU_DEP_4)
	v_add_f32_e32 v128, v155, v117
	v_add_f32_e32 v96, v132, v96
	;; [unrolled: 1-line block ×4, first 2 shown]
	v_dual_add_f32 v109, v182, v116 :: v_dual_add_f32 v94, v32, v94
	v_add_f32_e32 v108, v112, v108
	v_sub_f32_e32 v112, v119, v143
	v_sub_f32_e32 v102, v102, v133
	s_delay_alu instid0(VALU_DEP_4)
	v_dual_add_f32 v105, v109, v105 :: v_dual_mul_f32 v84, 0xbeedf032, v84
	v_add_f32_e32 v94, v96, v94
	v_add_f32_e32 v96, v136, v101
	;; [unrolled: 1-line block ×3, first 2 shown]
	v_fma_f32 v150, 0xbf788fa5, v97, -v150
	v_add_f32_e32 v108, v112, v108
	v_dual_sub_f32 v112, v120, v159 :: v_dual_add_f32 v35, v35, v33
	s_delay_alu instid0(VALU_DEP_4) | instskip(SKIP_2) | instid1(VALU_DEP_4)
	v_add_f32_e32 v101, v101, v105
	v_dual_mul_f32 v105, 0x3f116cb1, v92 :: v_dual_add_f32 v98, v102, v98
	v_dual_mul_f32 v170, 0x3eedf032, v86 :: v_dual_add_f32 v129, v150, v145
	v_dual_sub_f32 v104, v104, v137 :: v_dual_add_f32 v35, v45, v35
	v_dual_add_f32 v34, v34, v32 :: v_dual_fmac_f32 v175, 0x3f52af12, v81
	v_fmac_f32_e32 v176, 0xbf6f5d39, v83
	s_delay_alu instid0(VALU_DEP_3) | instskip(NEXT) | instid1(VALU_DEP_3)
	v_dual_add_f32 v98, v104, v98 :: v_dual_add_f32 v35, v47, v35
	v_dual_add_f32 v34, v44, v34 :: v_dual_fmamk_f32 v47, v74, 0x3f62ad3f, v84
	v_dual_sub_f32 v104, v106, v141 :: v_dual_mul_f32 v87, 0xbf52af12, v87
	s_delay_alu instid0(VALU_DEP_2) | instskip(SKIP_1) | instid1(VALU_DEP_2)
	v_dual_add_f32 v35, v53, v35 :: v_dual_add_f32 v34, v46, v34
	v_dual_add_f32 v94, v96, v94 :: v_dual_mul_f32 v53, 0xbf788fa5, v99
	v_dual_add_f32 v98, v104, v98 :: v_dual_add_f32 v35, v55, v35
	s_delay_alu instid0(VALU_DEP_3) | instskip(SKIP_2) | instid1(VALU_DEP_4)
	v_add_f32_e32 v34, v52, v34
	v_mul_f32_e32 v52, 0xbf7e222b, v88
	v_add_f32_e32 v96, v140, v103
	v_dual_mul_f32 v100, 0xbeb58ec6, v100 :: v_dual_add_f32 v35, v37, v35
	s_delay_alu instid0(VALU_DEP_4) | instskip(NEXT) | instid1(VALU_DEP_3)
	v_add_f32_e32 v34, v54, v34
	v_dual_fmamk_f32 v37, v78, 0x3df6dbef, v52 :: v_dual_add_f32 v92, v96, v94
	v_fmamk_f32 v54, v86, 0x3e750f2a, v53
	v_mul_f32_e32 v104, 0x3f62ad3f, v91
	v_fma_f32 v145, 0x3f116cb1, v99, -v152
	v_mul_f32_e32 v160, 0xbf29c268, v86
	v_dual_sub_f32 v91, v110, v154 :: v_dual_add_f32 v46, v32, v47
	s_delay_alu instid0(VALU_DEP_4) | instskip(SKIP_2) | instid1(VALU_DEP_4)
	v_fmamk_f32 v103, v76, 0x3eedf032, v104
	v_fmamk_f32 v47, v75, 0x3f116cb1, v87
	v_dual_add_f32 v129, v145, v129 :: v_dual_add_f32 v108, v112, v108
	v_dual_add_f32 v91, v91, v98 :: v_dual_sub_f32 v112, v121, v160
	v_mul_f32_e32 v95, 0x3df6dbef, v95
	v_add_f32_e32 v94, v146, v107
	v_dual_fmamk_f32 v98, v77, 0x3f52af12, v105 :: v_dual_add_f32 v39, v39, v35
	v_dual_add_f32 v46, v47, v46 :: v_dual_mul_f32 v47, 0xbf6f5d39, v89
	v_add_f32_e32 v96, v33, v103
	s_delay_alu instid0(VALU_DEP_4) | instskip(NEXT) | instid1(VALU_DEP_4)
	v_dual_sub_f32 v103, v113, v170 :: v_dual_add_f32 v94, v94, v92
	v_add_f32_e32 v39, v49, v39
	v_dual_add_f32 v106, v161, v111 :: v_dual_fmac_f32 v169, 0xbe750f2a, v76
	v_add_f32_e32 v34, v36, v34
	v_dual_add_f32 v36, v37, v46 :: v_dual_fmamk_f32 v37, v80, 0xbeb58ec6, v47
	v_add_f32_e32 v96, v98, v96
	v_fmamk_f32 v98, v79, 0x3f7e222b, v95
	v_fmac_f32_e32 v95, 0xbf7e222b, v79
	v_fmac_f32_e32 v180, 0x3f7e222b, v86
	v_dual_add_f32 v36, v37, v36 :: v_dual_add_f32 v37, v51, v39
	v_dual_add_f32 v92, v103, v91 :: v_dual_add_f32 v91, v106, v94
	;; [unrolled: 1-line block ×3, first 2 shown]
	v_fmac_f32_e32 v171, 0xbf29c268, v79
	v_fmac_f32_e32 v158, 0x3eedf032, v77
	v_fmamk_f32 v96, v81, 0x3f6f5d39, v100
	v_fmac_f32_e32 v100, 0xbf6f5d39, v81
	v_add_f32_e32 v34, v38, v34
	v_dual_add_f32 v102, v112, v108 :: v_dual_mul_f32 v45, 0xbf3f9e67, v97
	v_add_f32_e32 v37, v41, v37
	v_dual_mul_f32 v46, 0xbe750f2a, v93 :: v_dual_fmac_f32 v53, 0xbe750f2a, v86
	s_delay_alu instid0(VALU_DEP_4) | instskip(NEXT) | instid1(VALU_DEP_3)
	v_dual_add_f32 v34, v48, v34 :: v_dual_add_f32 v39, v158, v39
	v_add_f32_e32 v37, v43, v37
	v_fmamk_f32 v44, v83, 0x3f29c268, v45
	s_delay_alu instid0(VALU_DEP_3) | instskip(NEXT) | instid1(VALU_DEP_4)
	v_dual_fmac_f32 v45, 0xbf29c268, v83 :: v_dual_add_f32 v34, v50, v34
	v_dual_add_f32 v94, v96, v94 :: v_dual_add_f32 v39, v171, v39
	s_delay_alu instid0(VALU_DEP_4) | instskip(NEXT) | instid1(VALU_DEP_3)
	v_add_f32_e32 v37, v58, v37
	v_dual_fmac_f32 v105, 0xbf52af12, v77 :: v_dual_add_f32 v40, v40, v34
	v_mul_f32_e32 v38, 0xbf29c268, v90
	v_fmamk_f32 v41, v85, 0xbf788fa5, v46
	s_delay_alu instid0(VALU_DEP_3) | instskip(SKIP_2) | instid1(VALU_DEP_3)
	v_dual_add_f32 v39, v175, v39 :: v_dual_add_f32 v40, v42, v40
	v_fma_f32 v42, 0x3f62ad3f, v75, -v174
	v_add_f32_e32 v44, v44, v94
	v_add_f32_e32 v39, v176, v39
	s_delay_alu instid0(VALU_DEP_2) | instskip(SKIP_1) | instid1(VALU_DEP_1)
	v_add_f32_e32 v35, v54, v44
	v_fmac_f32_e32 v104, 0xbeedf032, v76
	v_add_f32_e32 v33, v33, v104
	s_delay_alu instid0(VALU_DEP_1) | instskip(NEXT) | instid1(VALU_DEP_1)
	v_add_f32_e32 v33, v105, v33
	v_add_f32_e32 v33, v95, v33
	s_delay_alu instid0(VALU_DEP_1) | instskip(NEXT) | instid1(VALU_DEP_1)
	v_dual_add_f32 v33, v100, v33 :: v_dual_fmamk_f32 v44, v82, 0xbf3f9e67, v38
	v_dual_add_f32 v43, v45, v33 :: v_dual_add_f32 v36, v44, v36
	v_fma_f32 v44, 0xbf788fa5, v85, -v46
	v_add_f32_e32 v33, v180, v39
	s_delay_alu instid0(VALU_DEP_3) | instskip(NEXT) | instid1(VALU_DEP_4)
	v_add_f32_e32 v39, v53, v43
	v_add_f32_e32 v34, v41, v36
	v_fma_f32 v36, 0xbf788fa5, v74, -v168
	s_delay_alu instid0(VALU_DEP_1) | instskip(SKIP_2) | instid1(VALU_DEP_3)
	v_add_f32_e32 v41, v32, v36
	v_add_f32_e32 v36, v57, v40
	v_fma_f32 v40, 0x3f62ad3f, v74, -v84
	v_add_f32_e32 v41, v42, v41
	v_fma_f32 v42, 0xbf3f9e67, v78, -v177
	s_delay_alu instid0(VALU_DEP_3) | instskip(SKIP_1) | instid1(VALU_DEP_3)
	v_add_f32_e32 v32, v32, v40
	v_fma_f32 v40, 0x3f116cb1, v75, -v87
	v_add_f32_e32 v41, v42, v41
	v_fma_f32 v42, 0x3f116cb1, v80, -v173
	s_delay_alu instid0(VALU_DEP_3) | instskip(SKIP_1) | instid1(VALU_DEP_3)
	;; [unrolled: 5-line block ×3, first 2 shown]
	v_add_f32_e32 v32, v40, v32
	v_fma_f32 v40, 0xbeb58ec6, v80, -v47
	v_add_f32_e32 v41, v42, v41
	v_fma_f32 v38, 0xbf3f9e67, v82, -v38
	s_delay_alu instid0(VALU_DEP_3) | instskip(SKIP_2) | instid1(VALU_DEP_3)
	v_add_f32_e32 v32, v40, v32
	v_and_b32_e32 v42, 0xffff, v72
	v_fma_f32 v40, 0x3df6dbef, v85, -v181
	v_add_f32_e32 v38, v38, v32
	s_delay_alu instid0(VALU_DEP_3) | instskip(NEXT) | instid1(VALU_DEP_3)
	v_lshlrev_b32_e32 v42, 3, v42
	v_add_f32_e32 v32, v40, v41
	s_delay_alu instid0(VALU_DEP_3)
	v_add_f32_e32 v38, v44, v38
	ds_store_2addr_b64 v42, v[36:37], v[34:35] offset1:1
	ds_store_2addr_b64 v42, v[91:92], v[101:102] offset0:2 offset1:3
	ds_store_2addr_b64 v42, v[128:129], v[126:127] offset0:4 offset1:5
	;; [unrolled: 1-line block ×5, first 2 shown]
	ds_store_b64 v42, v[38:39] offset:96
.LBB0_17:
	s_wait_alu 0xfffe
	s_or_b32 exec_lo, exec_lo, s1
	global_wb scope:SCOPE_SE
	s_wait_dscnt 0x0
	s_barrier_signal -1
	s_barrier_wait -1
	global_inv scope:SCOPE_SE
	ds_load_2addr_b64 v[32:35], v70 offset1:52
	ds_load_2addr_b64 v[37:40], v70 offset0:104 offset1:156
	s_wait_dscnt 0x1
	v_dual_mul_f32 v53, v13, v35 :: v_dual_add_nc_u32 v36, 0x800, v70
	s_wait_dscnt 0x0
	v_dual_mul_f32 v54, v15, v38 :: v_dual_mul_f32 v55, v9, v40
	s_delay_alu instid0(VALU_DEP_1)
	v_dual_fmac_f32 v54, v14, v37 :: v_dual_add_nc_u32 v41, 0x400, v70
	ds_load_2addr_b64 v[41:44], v41 offset0:80 offset1:132
	ds_load_2addr_b64 v[45:48], v36 offset0:56 offset1:108
	;; [unrolled: 1-line block ×3, first 2 shown]
	v_mul_f32_e32 v13, v13, v34
	v_mul_f32_e32 v15, v15, v37
	v_fmac_f32_e32 v53, v12, v34
	v_mul_f32_e32 v9, v9, v39
	v_fmac_f32_e32 v55, v8, v39
	v_fma_f32 v12, v12, v35, -v13
	v_fma_f32 v13, v14, v38, -v15
	global_wb scope:SCOPE_SE
	s_wait_dscnt 0x0
	s_barrier_signal -1
	s_barrier_wait -1
	global_inv scope:SCOPE_SE
	v_mul_f32_e32 v14, v5, v44
	v_dual_mul_f32 v5, v5, v43 :: v_dual_mul_f32 v34, v60, v52
	v_fma_f32 v8, v8, v40, -v9
	s_delay_alu instid0(VALU_DEP_3) | instskip(NEXT) | instid1(VALU_DEP_3)
	v_fmac_f32_e32 v14, v4, v43
	v_fma_f32 v4, v4, v44, -v5
	v_mul_f32_e32 v5, v3, v49
	v_fmac_f32_e32 v34, v59, v51
	s_delay_alu instid0(VALU_DEP_2) | instskip(SKIP_1) | instid1(VALU_DEP_1)
	v_fma_f32 v5, v2, v50, -v5
	v_mul_f32_e32 v3, v3, v50
	v_fmac_f32_e32 v3, v2, v49
	s_delay_alu instid0(VALU_DEP_1) | instskip(NEXT) | instid1(VALU_DEP_1)
	v_dual_mul_f32 v9, v11, v42 :: v_dual_add_f32 v40, v54, v3
	v_fmac_f32_e32 v9, v10, v41
	s_delay_alu instid0(VALU_DEP_1) | instskip(SKIP_1) | instid1(VALU_DEP_2)
	v_dual_sub_f32 v38, v54, v9 :: v_dual_mul_f32 v15, v7, v46
	v_mul_f32_e32 v7, v7, v45
	v_fmac_f32_e32 v15, v6, v45
	s_delay_alu instid0(VALU_DEP_2) | instskip(SKIP_1) | instid1(VALU_DEP_3)
	v_fma_f32 v6, v6, v46, -v7
	v_add_f32_e32 v35, v32, v54
	v_add_f32_e32 v7, v9, v15
	v_sub_f32_e32 v39, v3, v15
	s_delay_alu instid0(VALU_DEP_2) | instskip(NEXT) | instid1(VALU_DEP_2)
	v_fma_f32 v37, -0.5, v7, v32
	v_dual_sub_f32 v7, v13, v5 :: v_dual_add_f32 v38, v38, v39
	v_fma_f32 v39, -0.5, v40, v32
	s_delay_alu instid0(VALU_DEP_2) | instskip(SKIP_3) | instid1(VALU_DEP_3)
	v_fmamk_f32 v2, v7, 0xbf737871, v37
	v_mul_f32_e32 v11, v11, v41
	v_mul_f32_e32 v41, v60, v51
	v_fmac_f32_e32 v37, 0x3f737871, v7
	v_fma_f32 v10, v10, v42, -v11
	v_mul_f32_e32 v11, v1, v48
	v_mul_f32_e32 v1, v1, v47
	v_fma_f32 v32, v59, v52, -v41
	s_delay_alu instid0(VALU_DEP_3) | instskip(NEXT) | instid1(VALU_DEP_3)
	v_dual_add_f32 v44, v10, v6 :: v_dual_fmac_f32 v11, v0, v47
	v_fma_f32 v0, v0, v48, -v1
	v_add_f32_e32 v1, v35, v9
	v_sub_f32_e32 v35, v10, v6
	s_delay_alu instid0(VALU_DEP_1) | instskip(SKIP_3) | instid1(VALU_DEP_4)
	v_fmac_f32_e32 v2, 0xbf167918, v35
	v_fmamk_f32 v40, v35, 0x3f737871, v39
	v_fmac_f32_e32 v37, 0x3f167918, v35
	v_fmac_f32_e32 v39, 0xbf737871, v35
	;; [unrolled: 1-line block ×3, first 2 shown]
	s_delay_alu instid0(VALU_DEP_4) | instskip(SKIP_4) | instid1(VALU_DEP_4)
	v_dual_sub_f32 v41, v9, v54 :: v_dual_fmac_f32 v40, 0xbf167918, v7
	v_sub_f32_e32 v42, v15, v3
	v_add_f32_e32 v1, v1, v15
	v_fmac_f32_e32 v37, 0x3e9e377a, v38
	v_dual_fmac_f32 v39, 0x3f167918, v7 :: v_dual_add_f32 v38, v13, v5
	v_add_f32_e32 v41, v41, v42
	v_fma_f32 v42, -0.5, v44, v33
	v_sub_f32_e32 v9, v9, v15
	v_sub_f32_e32 v15, v13, v10
	v_fma_f32 v38, -0.5, v38, v33
	v_fmac_f32_e32 v40, 0x3e9e377a, v41
	v_add_f32_e32 v43, v33, v13
	v_dual_fmac_f32 v39, 0x3e9e377a, v41 :: v_dual_sub_f32 v44, v11, v34
	s_delay_alu instid0(VALU_DEP_4) | instskip(NEXT) | instid1(VALU_DEP_3)
	v_fmamk_f32 v41, v9, 0xbf737871, v38
	v_dual_fmac_f32 v38, 0x3f737871, v9 :: v_dual_add_f32 v35, v43, v10
	v_dual_sub_f32 v43, v5, v6 :: v_dual_sub_f32 v10, v10, v13
	s_delay_alu instid0(VALU_DEP_2) | instskip(NEXT) | instid1(VALU_DEP_1)
	v_add_f32_e32 v7, v35, v6
	v_add_f32_e32 v33, v7, v5
	v_dual_sub_f32 v5, v6, v5 :: v_dual_add_f32 v6, v53, v55
	v_add_f32_e32 v1, v1, v3
	v_sub_f32_e32 v3, v54, v3
	v_add_f32_e32 v7, v15, v43
	s_delay_alu instid0(VALU_DEP_4) | instskip(SKIP_1) | instid1(VALU_DEP_4)
	v_add_f32_e32 v5, v10, v5
	v_add_f32_e32 v6, v6, v14
	v_dual_sub_f32 v10, v34, v11 :: v_dual_fmamk_f32 v35, v3, 0x3f737871, v42
	v_fmac_f32_e32 v42, 0xbf737871, v3
	v_fmac_f32_e32 v41, 0x3f167918, v3
	v_fmac_f32_e32 v38, 0xbf167918, v3
	v_add_f32_e32 v3, v6, v11
	v_fmac_f32_e32 v35, 0x3f167918, v9
	v_dual_fmac_f32 v42, 0xbf167918, v9 :: v_dual_add_f32 v9, v14, v11
	v_add_f32_e32 v6, v55, v34
	s_delay_alu instid0(VALU_DEP_4) | instskip(NEXT) | instid1(VALU_DEP_4)
	v_add_f32_e32 v3, v3, v34
	v_fmac_f32_e32 v35, 0x3e9e377a, v7
	s_delay_alu instid0(VALU_DEP_4)
	v_fmac_f32_e32 v42, 0x3e9e377a, v7
	v_fma_f32 v7, -0.5, v9, v53
	v_sub_f32_e32 v9, v8, v32
	v_fmac_f32_e32 v41, 0x3e9e377a, v5
	v_dual_fmac_f32 v38, 0x3e9e377a, v5 :: v_dual_sub_f32 v5, v4, v0
	v_fmac_f32_e32 v53, -0.5, v6
	s_delay_alu instid0(VALU_DEP_4) | instskip(SKIP_2) | instid1(VALU_DEP_4)
	v_dual_fmamk_f32 v13, v9, 0xbf737871, v7 :: v_dual_sub_f32 v6, v55, v14
	v_fmac_f32_e32 v7, 0x3f737871, v9
	v_sub_f32_e32 v43, v14, v55
	v_fmamk_f32 v15, v5, 0x3f737871, v53
	s_delay_alu instid0(VALU_DEP_4) | instskip(NEXT) | instid1(VALU_DEP_4)
	v_dual_fmac_f32 v13, 0xbf167918, v5 :: v_dual_add_f32 v6, v6, v10
	v_fmac_f32_e32 v7, 0x3f167918, v5
	v_fmac_f32_e32 v53, 0xbf737871, v5
	s_delay_alu instid0(VALU_DEP_4)
	v_fmac_f32_e32 v15, 0xbf167918, v9
	v_sub_f32_e32 v11, v14, v11
	v_fmac_f32_e32 v13, 0x3e9e377a, v6
	v_add_f32_e32 v5, v4, v0
	v_dual_fmac_f32 v7, 0x3e9e377a, v6 :: v_dual_add_f32 v6, v8, v32
	v_fmac_f32_e32 v53, 0x3f167918, v9
	v_sub_f32_e32 v9, v55, v34
	s_delay_alu instid0(VALU_DEP_4)
	v_fma_f32 v5, -0.5, v5, v12
	v_add_f32_e32 v34, v12, v8
	v_fmac_f32_e32 v12, -0.5, v6
	v_add_f32_e32 v10, v43, v44
	v_sub_f32_e32 v6, v8, v4
	v_sub_f32_e32 v8, v4, v8
	s_delay_alu instid0(VALU_DEP_4)
	v_dual_sub_f32 v44, v0, v32 :: v_dual_fmamk_f32 v43, v11, 0xbf737871, v12
	v_fmac_f32_e32 v12, 0x3f737871, v11
	v_fmac_f32_e32 v15, 0x3e9e377a, v10
	;; [unrolled: 1-line block ×3, first 2 shown]
	v_fmamk_f32 v14, v9, 0x3f737871, v5
	v_sub_f32_e32 v10, v32, v0
	v_add_f32_e32 v8, v8, v44
	v_fmac_f32_e32 v12, 0xbf167918, v9
	v_fmac_f32_e32 v5, 0xbf737871, v9
	;; [unrolled: 1-line block ×3, first 2 shown]
	v_dual_add_f32 v6, v6, v10 :: v_dual_fmac_f32 v43, 0x3f167918, v9
	s_delay_alu instid0(VALU_DEP_4) | instskip(NEXT) | instid1(VALU_DEP_4)
	v_fmac_f32_e32 v12, 0x3e9e377a, v8
	v_dual_fmac_f32 v5, 0xbf167918, v11 :: v_dual_add_f32 v4, v34, v4
	s_delay_alu instid0(VALU_DEP_3) | instskip(NEXT) | instid1(VALU_DEP_3)
	v_dual_fmac_f32 v14, 0x3e9e377a, v6 :: v_dual_fmac_f32 v43, 0x3e9e377a, v8
	v_mul_f32_e32 v45, 0xbf737871, v12
	s_delay_alu instid0(VALU_DEP_3) | instskip(NEXT) | instid1(VALU_DEP_3)
	v_dual_fmac_f32 v5, 0x3e9e377a, v6 :: v_dual_add_f32 v0, v4, v0
	v_mul_f32_e32 v34, 0xbf167918, v14
	v_mul_f32_e32 v48, 0x3f4f1bbd, v14
	s_delay_alu instid0(VALU_DEP_4)
	v_fmac_f32_e32 v45, 0xbe9e377a, v53
	v_mul_f32_e32 v44, 0xbf737871, v43
	v_mul_f32_e32 v43, 0x3e9e377a, v43
	;; [unrolled: 1-line block ×5, first 2 shown]
	v_add_f32_e32 v46, v0, v32
	v_sub_f32_e32 v0, v39, v45
	v_fmac_f32_e32 v34, 0x3f4f1bbd, v13
	v_fmac_f32_e32 v48, 0x3f167918, v13
	;; [unrolled: 1-line block ×7, first 2 shown]
	v_add_f32_e32 v4, v1, v3
	v_add_f32_e32 v6, v2, v34
	;; [unrolled: 1-line block ×5, first 2 shown]
	v_dual_add_f32 v10, v39, v45 :: v_dual_add_f32 v9, v41, v43
	v_dual_add_f32 v11, v38, v49 :: v_dual_add_f32 v12, v37, v47
	v_dual_add_f32 v13, v42, v50 :: v_dual_sub_f32 v14, v1, v3
	v_sub_f32_e32 v15, v33, v46
	v_sub_f32_e32 v32, v2, v34
	;; [unrolled: 1-line block ×5, first 2 shown]
	v_dual_sub_f32 v2, v37, v47 :: v_dual_sub_f32 v1, v38, v49
	v_sub_f32_e32 v3, v42, v50
	ds_store_2addr_b64 v73, v[4:5], v[6:7] offset1:13
	ds_store_2addr_b64 v73, v[8:9], v[10:11] offset0:26 offset1:39
	ds_store_2addr_b64 v73, v[12:13], v[14:15] offset0:52 offset1:65
	;; [unrolled: 1-line block ×4, first 2 shown]
	global_wb scope:SCOPE_SE
	s_wait_dscnt 0x0
	s_barrier_signal -1
	s_barrier_wait -1
	global_inv scope:SCOPE_SE
	ds_load_2addr_b64 v[4:7], v70 offset1:52
	ds_load_2addr_b64 v[32:35], v70 offset0:130 offset1:182
	ds_load_2addr_b64 v[8:11], v36 offset0:4 offset1:56
	;; [unrolled: 1-line block ×3, first 2 shown]
	s_and_saveexec_b32 s1, s0
	s_cbranch_execz .LBB0_19
; %bb.18:
	ds_load_2addr_b64 v[0:3], v70 offset0:104 offset1:234
	ds_load_2addr_b64 v[28:31], v36 offset0:108 offset1:238
.LBB0_19:
	s_wait_alu 0xfffe
	s_or_b32 exec_lo, exec_lo, s1
	s_wait_dscnt 0x1
	v_mul_f32_e32 v38, v27, v9
	v_mul_f32_e32 v37, v25, v33
	;; [unrolled: 1-line block ×4, first 2 shown]
	s_delay_alu instid0(VALU_DEP_4)
	v_fmac_f32_e32 v38, v26, v8
	s_wait_dscnt 0x0
	v_dual_fmac_f32 v37, v24, v32 :: v_dual_mul_f32 v8, v66, v13
	v_fma_f32 v24, v24, v33, -v25
	v_mul_f32_e32 v25, v66, v12
	v_fma_f32 v9, v26, v9, -v27
	v_mul_f32_e32 v26, v21, v35
	v_fmac_f32_e32 v8, v65, v12
	v_mul_f32_e32 v12, v23, v11
	v_fma_f32 v13, v65, v13, -v25
	v_mul_f32_e32 v21, v21, v34
	s_delay_alu instid0(VALU_DEP_4) | instskip(NEXT) | instid1(VALU_DEP_4)
	v_dual_fmac_f32 v26, v20, v34 :: v_dual_sub_f32 v25, v37, v8
	v_fmac_f32_e32 v12, v22, v10
	v_mul_f32_e32 v8, v23, v10
	v_sub_f32_e32 v10, v24, v13
	v_mul_f32_e32 v13, v64, v15
	v_fma_f32 v20, v20, v35, -v21
	v_sub_f32_e32 v21, v4, v38
	v_sub_f32_e32 v23, v5, v9
	v_fma_f32 v11, v22, v11, -v8
	v_dual_fmac_f32 v13, v63, v14 :: v_dual_sub_f32 v22, v6, v12
	s_delay_alu instid0(VALU_DEP_4)
	v_fma_f32 v9, v4, 2.0, -v21
	v_fma_f32 v4, v37, 2.0, -v25
	v_mul_f32_e32 v27, v64, v14
	v_fma_f32 v32, v5, 2.0, -v23
	v_fma_f32 v5, v24, 2.0, -v10
	v_sub_f32_e32 v24, v7, v11
	v_sub_f32_e32 v4, v9, v4
	v_fma_f32 v14, v63, v15, -v27
	v_sub_f32_e32 v15, v26, v13
	v_sub_f32_e32 v5, v32, v5
	v_fma_f32 v27, v6, 2.0, -v22
	v_fma_f32 v33, v7, 2.0, -v24
	v_sub_f32_e32 v14, v20, v14
	v_fma_f32 v7, v26, 2.0, -v15
	v_dual_add_f32 v10, v21, v10 :: v_dual_sub_f32 v11, v23, v25
	v_sub_f32_e32 v15, v24, v15
	s_delay_alu instid0(VALU_DEP_4) | instskip(NEXT) | instid1(VALU_DEP_4)
	v_fma_f32 v13, v20, 2.0, -v14
	v_sub_f32_e32 v12, v27, v7
	v_add_f32_e32 v14, v22, v14
	v_fma_f32 v8, v9, 2.0, -v4
	v_fma_f32 v9, v32, 2.0, -v5
	v_sub_f32_e32 v13, v33, v13
	v_fma_f32 v6, v21, 2.0, -v10
	v_fma_f32 v20, v27, 2.0, -v12
	;; [unrolled: 1-line block ×6, first 2 shown]
	ds_store_2addr_b64 v70, v[8:9], v[20:21] offset1:52
	ds_store_2addr_b64 v70, v[6:7], v[22:23] offset0:130 offset1:182
	ds_store_2addr_b64 v36, v[4:5], v[12:13] offset0:4 offset1:56
	ds_store_2addr_b64 v36, v[10:11], v[14:15] offset0:134 offset1:186
	s_and_saveexec_b32 s1, s0
	s_cbranch_execz .LBB0_21
; %bb.20:
	v_dual_mul_f32 v4, v19, v28 :: v_dual_mul_f32 v5, v17, v3
	v_dual_mul_f32 v6, v19, v29 :: v_dual_mul_f32 v7, v17, v2
	s_delay_alu instid0(VALU_DEP_2) | instskip(SKIP_1) | instid1(VALU_DEP_3)
	v_fma_f32 v4, v18, v29, -v4
	v_mul_f32_e32 v9, v62, v31
	v_dual_fmac_f32 v5, v16, v2 :: v_dual_fmac_f32 v6, v18, v28
	s_delay_alu instid0(VALU_DEP_4) | instskip(NEXT) | instid1(VALU_DEP_4)
	v_fma_f32 v2, v16, v3, -v7
	v_sub_f32_e32 v4, v1, v4
	s_delay_alu instid0(VALU_DEP_3) | instskip(SKIP_1) | instid1(VALU_DEP_1)
	v_sub_f32_e32 v6, v0, v6
	v_fmac_f32_e32 v9, v61, v30
	v_dual_mul_f32 v8, v62, v30 :: v_dual_sub_f32 v7, v5, v9
	s_delay_alu instid0(VALU_DEP_1) | instskip(NEXT) | instid1(VALU_DEP_4)
	v_fma_f32 v3, v61, v31, -v8
	v_fma_f32 v9, v0, 2.0, -v6
	v_fma_f32 v8, v1, 2.0, -v4
	s_delay_alu instid0(VALU_DEP_4) | instskip(NEXT) | instid1(VALU_DEP_4)
	v_fma_f32 v5, v5, 2.0, -v7
	v_sub_f32_e32 v3, v2, v3
	v_sub_f32_e32 v1, v4, v7
	s_delay_alu instid0(VALU_DEP_2) | instskip(NEXT) | instid1(VALU_DEP_1)
	v_fma_f32 v2, v2, 2.0, -v3
	v_dual_add_f32 v0, v6, v3 :: v_dual_sub_f32 v3, v8, v2
	v_sub_f32_e32 v2, v9, v5
	s_delay_alu instid0(VALU_DEP_2)
	v_fma_f32 v7, v8, 2.0, -v3
	v_add_nc_u32_e32 v8, 0x800, v70
	v_fma_f32 v5, v4, 2.0, -v1
	v_fma_f32 v4, v6, 2.0, -v0
	;; [unrolled: 1-line block ×3, first 2 shown]
	ds_store_2addr_b64 v70, v[6:7], v[4:5] offset0:104 offset1:234
	ds_store_2addr_b64 v8, v[2:3], v[0:1] offset0:108 offset1:238
.LBB0_21:
	s_wait_alu 0xfffe
	s_or_b32 exec_lo, exec_lo, s1
	global_wb scope:SCOPE_SE
	s_wait_dscnt 0x0
	s_barrier_signal -1
	s_barrier_wait -1
	global_inv scope:SCOPE_SE
	s_and_b32 exec_lo, exec_lo, vcc_lo
	s_cbranch_execz .LBB0_23
; %bb.22:
	s_clause 0xc
	global_load_b64 v[24:25], v70, s[12:13]
	global_load_b64 v[26:27], v70, s[12:13] offset:320
	global_load_b64 v[28:29], v70, s[12:13] offset:640
	;; [unrolled: 1-line block ×12, first 2 shown]
	v_mad_co_u64_u32 v[4:5], null, s4, v71, 0
	v_mad_co_u64_u32 v[0:1], null, s6, v56, 0
	s_mul_u64 s[0:1], s[4:5], 0x140
	s_mov_b32 s2, 0x1f81f820
	s_mov_b32 s3, 0x3f5f81f8
	v_add_nc_u32_e32 v20, 0x800, v70
	s_delay_alu instid0(VALU_DEP_3) | instskip(NEXT) | instid1(VALU_DEP_1)
	v_mov_b32_e32 v2, v5
	v_mad_co_u64_u32 v[5:6], null, s7, v56, v[1:2]
	s_delay_alu instid0(VALU_DEP_1) | instskip(SKIP_1) | instid1(VALU_DEP_2)
	v_mov_b32_e32 v1, v5
	v_mad_co_u64_u32 v[2:3], null, s5, v71, v[2:3]
	v_lshlrev_b64_e32 v[6:7], 3, v[0:1]
	s_delay_alu instid0(VALU_DEP_2)
	v_mov_b32_e32 v5, v2
	ds_load_b64 v[50:51], v70
	ds_load_2addr_b64 v[0:3], v70 offset0:40 offset1:80
	v_add_co_u32 v75, vcc_lo, s8, v6
	v_add_co_ci_u32_e32 v76, vcc_lo, s9, v7, vcc_lo
	v_lshlrev_b64_e32 v[8:9], 3, v[4:5]
	ds_load_2addr_b64 v[4:7], v70 offset0:120 offset1:160
	ds_load_2addr_b64 v[12:15], v20 offset0:24 offset1:64
	;; [unrolled: 1-line block ×4, first 2 shown]
	v_add_co_u32 v52, vcc_lo, v75, v8
	s_wait_alu 0xfffd
	v_add_co_ci_u32_e32 v53, vcc_lo, v76, v9, vcc_lo
	ds_load_2addr_b64 v[8:11], v70 offset0:200 offset1:240
	s_wait_alu 0xfffe
	v_add_co_u32 v54, vcc_lo, v52, s0
	s_wait_alu 0xfffd
	v_add_co_ci_u32_e32 v55, vcc_lo, s1, v53, vcc_lo
	s_delay_alu instid0(VALU_DEP_2) | instskip(SKIP_1) | instid1(VALU_DEP_2)
	v_add_co_u32 v56, vcc_lo, v54, s0
	s_wait_alu 0xfffd
	v_add_co_ci_u32_e32 v57, vcc_lo, s1, v55, vcc_lo
	s_delay_alu instid0(VALU_DEP_2) | instskip(SKIP_1) | instid1(VALU_DEP_2)
	;; [unrolled: 4-line block ×4, first 2 shown]
	v_add_co_u32 v62, vcc_lo, v60, s0
	s_wait_alu 0xfffd
	v_add_co_ci_u32_e32 v63, vcc_lo, s1, v61, vcc_lo
	s_wait_loadcnt_dscnt 0xb05
	v_dual_mul_f32 v64, v51, v25 :: v_dual_mul_f32 v65, v1, v27
	v_mul_f32_e32 v25, v50, v25
	s_wait_loadcnt 0xa
	v_dual_mul_f32 v27, v0, v27 :: v_dual_mul_f32 v66, v3, v29
	s_wait_loadcnt_dscnt 0x804
	v_dual_mul_f32 v67, v5, v31 :: v_dual_mul_f32 v68, v7, v33
	v_dual_mul_f32 v31, v4, v31 :: v_dual_fmac_f32 v64, v50, v24
	v_fmac_f32_e32 v65, v0, v26
	s_wait_loadcnt_dscnt 0x503
	v_dual_mul_f32 v29, v2, v29 :: v_dual_mul_f32 v72, v13, v39
	s_wait_dscnt 0x0
	v_mul_f32_e32 v70, v9, v35
	v_dual_mul_f32 v35, v8, v35 :: v_dual_fmac_f32 v66, v2, v28
	v_fma_f32 v24, v24, v51, -v25
	v_fma_f32 v25, v26, v1, -v27
	v_cvt_f64_f32_e32 v[0:1], v64
	v_add_co_u32 v64, vcc_lo, v62, s0
	s_wait_loadcnt 0x1
	v_dual_mul_f32 v71, v11, v37 :: v_dual_mul_f32 v78, v21, v47
	v_dual_mul_f32 v39, v12, v39 :: v_dual_fmac_f32 v68, v6, v32
	v_fmac_f32_e32 v67, v4, v30
	v_fma_f32 v27, v30, v5, -v31
	v_cvt_f64_f32_e32 v[4:5], v65
	s_wait_alu 0xfffd
	v_add_co_ci_u32_e32 v65, vcc_lo, s1, v63, vcc_lo
	v_dual_mul_f32 v37, v10, v37 :: v_dual_fmac_f32 v70, v8, v34
	v_fma_f32 v26, v28, v3, -v29
	v_fma_f32 v29, v34, v9, -v35
	v_cvt_f64_f32_e32 v[8:9], v66
	v_add_co_u32 v66, vcc_lo, v64, s0
	v_dual_mul_f32 v33, v6, v33 :: v_dual_mul_f32 v74, v17, v43
	v_dual_mul_f32 v73, v15, v41 :: v_dual_fmac_f32 v72, v12, v38
	v_mul_f32_e32 v47, v20, v47
	v_fmac_f32_e32 v71, v10, v36
	v_fma_f32 v31, v38, v13, -v39
	v_cvt_f64_f32_e32 v[12:13], v67
	s_wait_alu 0xfffd
	v_add_co_ci_u32_e32 v67, vcc_lo, s1, v65, vcc_lo
	v_dual_mul_f32 v41, v14, v41 :: v_dual_fmac_f32 v74, v16, v42
	v_dual_mul_f32 v77, v19, v45 :: v_dual_fmac_f32 v78, v20, v46
	v_mul_f32_e32 v45, v18, v45
	v_fma_f32 v28, v32, v7, -v33
	v_fma_f32 v46, v46, v21, -v47
	v_cvt_f64_f32_e32 v[2:3], v24
	v_cvt_f64_f32_e32 v[6:7], v25
	v_cvt_f64_f32_e32 v[20:21], v70
	v_cvt_f64_f32_e32 v[24:25], v71
	v_mad_co_u64_u32 v[70:71], null, 0x280, s4, v[66:67]
	v_mul_f32_e32 v43, v16, v43
	s_wait_loadcnt 0x0
	v_mul_f32_e32 v79, v23, v49
	v_mul_f32_e32 v49, v22, v49
	v_fma_f32 v30, v36, v11, -v37
	v_cvt_f64_f32_e32 v[10:11], v26
	v_fmac_f32_e32 v73, v14, v40
	v_fma_f32 v34, v40, v15, -v41
	v_cvt_f64_f32_e32 v[14:15], v27
	v_fma_f32 v38, v42, v17, -v43
	v_fmac_f32_e32 v77, v18, v44
	v_fma_f32 v42, v44, v19, -v45
	v_cvt_f64_f32_e32 v[16:17], v68
	v_mov_b32_e32 v68, v71
	v_cvt_f64_f32_e32 v[18:19], v28
	v_fmac_f32_e32 v79, v22, v48
	v_fma_f32 v50, v48, v23, -v49
	v_cvt_f64_f32_e32 v[22:23], v29
	v_cvt_f64_f32_e32 v[26:27], v30
	;; [unrolled: 1-line block ×14, first 2 shown]
	v_mul_f64_e32 v[0:1], s[2:3], v[0:1]
	v_mul_f64_e32 v[4:5], s[2:3], v[4:5]
	;; [unrolled: 1-line block ×8, first 2 shown]
	v_mad_co_u64_u32 v[72:73], null, s4, v69, 0
	v_mul_f64_e32 v[10:11], s[2:3], v[10:11]
	v_mul_f64_e32 v[14:15], s[2:3], v[14:15]
	s_delay_alu instid0(VALU_DEP_3)
	v_mov_b32_e32 v71, v73
	v_mad_co_u64_u32 v[73:74], null, 0x280, s5, v[68:69]
	v_mul_f64_e32 v[16:17], s[2:3], v[16:17]
	v_mul_f64_e32 v[18:19], s[2:3], v[18:19]
	v_mul_f64_e32 v[22:23], s[2:3], v[22:23]
	v_mul_f64_e32 v[26:27], s[2:3], v[26:27]
	v_mul_f64_e32 v[28:29], s[2:3], v[28:29]
	v_mul_f64_e32 v[30:31], s[2:3], v[30:31]
	v_mul_f64_e32 v[32:33], s[2:3], v[32:33]
	v_mul_f64_e32 v[34:35], s[2:3], v[34:35]
	v_mul_f64_e32 v[36:37], s[2:3], v[36:37]
	v_mul_f64_e32 v[38:39], s[2:3], v[38:39]
	v_mul_f64_e32 v[40:41], s[2:3], v[40:41]
	v_mul_f64_e32 v[42:43], s[2:3], v[42:43]
	v_mul_f64_e32 v[44:45], s[2:3], v[44:45]
	v_mul_f64_e32 v[46:47], s[2:3], v[46:47]
	v_mul_f64_e32 v[48:49], s[2:3], v[48:49]
	v_mul_f64_e32 v[50:51], s[2:3], v[50:51]
	v_cvt_f32_f64_e32 v0, v[0:1]
	v_cvt_f32_f64_e32 v1, v[2:3]
	v_cvt_f32_f64_e32 v2, v[4:5]
	v_cvt_f32_f64_e32 v3, v[6:7]
	v_cvt_f32_f64_e32 v4, v[8:9]
	v_cvt_f32_f64_e32 v6, v[12:13]
	v_cvt_f32_f64_e32 v12, v[24:25]
	v_cvt_f32_f64_e32 v5, v[10:11]
	v_cvt_f32_f64_e32 v10, v[20:21]
	v_cvt_f32_f64_e32 v7, v[14:15]
	v_cvt_f32_f64_e32 v8, v[16:17]
	v_cvt_f32_f64_e32 v9, v[18:19]
	v_cvt_f32_f64_e32 v11, v[22:23]
	v_cvt_f32_f64_e32 v13, v[26:27]
	v_cvt_f32_f64_e32 v14, v[28:29]
	v_cvt_f32_f64_e32 v15, v[30:31]
	v_cvt_f32_f64_e32 v16, v[32:33]
	v_cvt_f32_f64_e32 v17, v[34:35]
	v_cvt_f32_f64_e32 v18, v[36:37]
	v_cvt_f32_f64_e32 v19, v[38:39]
	v_cvt_f32_f64_e32 v20, v[40:41]
	v_cvt_f32_f64_e32 v21, v[42:43]
	v_cvt_f32_f64_e32 v22, v[44:45]
	v_cvt_f32_f64_e32 v23, v[46:47]
	v_cvt_f32_f64_e32 v24, v[48:49]
	v_cvt_f32_f64_e32 v25, v[50:51]
	v_mad_co_u64_u32 v[26:27], null, s5, v69, v[71:72]
	v_mov_b32_e32 v71, v73
	s_delay_alu instid0(VALU_DEP_2) | instskip(SKIP_2) | instid1(VALU_DEP_3)
	v_mov_b32_e32 v73, v26
	v_add_co_u32 v26, vcc_lo, v70, s0
	s_wait_alu 0xfffd
	v_add_co_ci_u32_e32 v27, vcc_lo, s1, v71, vcc_lo
	s_delay_alu instid0(VALU_DEP_3) | instskip(NEXT) | instid1(VALU_DEP_3)
	v_lshlrev_b64_e32 v[28:29], 3, v[72:73]
	v_add_co_u32 v30, vcc_lo, v26, s0
	s_wait_alu 0xfffd
	s_delay_alu instid0(VALU_DEP_3) | instskip(NEXT) | instid1(VALU_DEP_3)
	v_add_co_ci_u32_e32 v31, vcc_lo, s1, v27, vcc_lo
	v_add_co_u32 v28, vcc_lo, v75, v28
	s_wait_alu 0xfffd
	v_add_co_ci_u32_e32 v29, vcc_lo, v76, v29, vcc_lo
	v_add_co_u32 v32, vcc_lo, v30, s0
	s_wait_alu 0xfffd
	v_add_co_ci_u32_e32 v33, vcc_lo, s1, v31, vcc_lo
	s_clause 0x4
	global_store_b64 v[52:53], v[0:1], off
	global_store_b64 v[54:55], v[2:3], off
	;; [unrolled: 1-line block ×13, first 2 shown]
.LBB0_23:
	s_nop 0
	s_sendmsg sendmsg(MSG_DEALLOC_VGPRS)
	s_endpgm
	.section	.rodata,"a",@progbits
	.p2align	6, 0x0
	.amdhsa_kernel bluestein_single_fwd_len520_dim1_sp_op_CI_CI
		.amdhsa_group_segment_fixed_size 4160
		.amdhsa_private_segment_fixed_size 0
		.amdhsa_kernarg_size 104
		.amdhsa_user_sgpr_count 2
		.amdhsa_user_sgpr_dispatch_ptr 0
		.amdhsa_user_sgpr_queue_ptr 0
		.amdhsa_user_sgpr_kernarg_segment_ptr 1
		.amdhsa_user_sgpr_dispatch_id 0
		.amdhsa_user_sgpr_private_segment_size 0
		.amdhsa_wavefront_size32 1
		.amdhsa_uses_dynamic_stack 0
		.amdhsa_enable_private_segment 0
		.amdhsa_system_sgpr_workgroup_id_x 1
		.amdhsa_system_sgpr_workgroup_id_y 0
		.amdhsa_system_sgpr_workgroup_id_z 0
		.amdhsa_system_sgpr_workgroup_info 0
		.amdhsa_system_vgpr_workitem_id 0
		.amdhsa_next_free_vgpr 183
		.amdhsa_next_free_sgpr 14
		.amdhsa_reserve_vcc 1
		.amdhsa_float_round_mode_32 0
		.amdhsa_float_round_mode_16_64 0
		.amdhsa_float_denorm_mode_32 3
		.amdhsa_float_denorm_mode_16_64 3
		.amdhsa_fp16_overflow 0
		.amdhsa_workgroup_processor_mode 1
		.amdhsa_memory_ordered 1
		.amdhsa_forward_progress 0
		.amdhsa_round_robin_scheduling 0
		.amdhsa_exception_fp_ieee_invalid_op 0
		.amdhsa_exception_fp_denorm_src 0
		.amdhsa_exception_fp_ieee_div_zero 0
		.amdhsa_exception_fp_ieee_overflow 0
		.amdhsa_exception_fp_ieee_underflow 0
		.amdhsa_exception_fp_ieee_inexact 0
		.amdhsa_exception_int_div_zero 0
	.end_amdhsa_kernel
	.text
.Lfunc_end0:
	.size	bluestein_single_fwd_len520_dim1_sp_op_CI_CI, .Lfunc_end0-bluestein_single_fwd_len520_dim1_sp_op_CI_CI
                                        ; -- End function
	.section	.AMDGPU.csdata,"",@progbits
; Kernel info:
; codeLenInByte = 14160
; NumSgprs: 16
; NumVgprs: 183
; ScratchSize: 0
; MemoryBound: 0
; FloatMode: 240
; IeeeMode: 1
; LDSByteSize: 4160 bytes/workgroup (compile time only)
; SGPRBlocks: 1
; VGPRBlocks: 22
; NumSGPRsForWavesPerEU: 16
; NumVGPRsForWavesPerEU: 183
; Occupancy: 8
; WaveLimiterHint : 1
; COMPUTE_PGM_RSRC2:SCRATCH_EN: 0
; COMPUTE_PGM_RSRC2:USER_SGPR: 2
; COMPUTE_PGM_RSRC2:TRAP_HANDLER: 0
; COMPUTE_PGM_RSRC2:TGID_X_EN: 1
; COMPUTE_PGM_RSRC2:TGID_Y_EN: 0
; COMPUTE_PGM_RSRC2:TGID_Z_EN: 0
; COMPUTE_PGM_RSRC2:TIDIG_COMP_CNT: 0
	.text
	.p2alignl 7, 3214868480
	.fill 96, 4, 3214868480
	.type	__hip_cuid_7b07b47d4aa81be6,@object ; @__hip_cuid_7b07b47d4aa81be6
	.section	.bss,"aw",@nobits
	.globl	__hip_cuid_7b07b47d4aa81be6
__hip_cuid_7b07b47d4aa81be6:
	.byte	0                               ; 0x0
	.size	__hip_cuid_7b07b47d4aa81be6, 1

	.ident	"AMD clang version 19.0.0git (https://github.com/RadeonOpenCompute/llvm-project roc-6.4.0 25133 c7fe45cf4b819c5991fe208aaa96edf142730f1d)"
	.section	".note.GNU-stack","",@progbits
	.addrsig
	.addrsig_sym __hip_cuid_7b07b47d4aa81be6
	.amdgpu_metadata
---
amdhsa.kernels:
  - .args:
      - .actual_access:  read_only
        .address_space:  global
        .offset:         0
        .size:           8
        .value_kind:     global_buffer
      - .actual_access:  read_only
        .address_space:  global
        .offset:         8
        .size:           8
        .value_kind:     global_buffer
      - .actual_access:  read_only
        .address_space:  global
        .offset:         16
        .size:           8
        .value_kind:     global_buffer
      - .actual_access:  read_only
        .address_space:  global
        .offset:         24
        .size:           8
        .value_kind:     global_buffer
      - .actual_access:  read_only
        .address_space:  global
        .offset:         32
        .size:           8
        .value_kind:     global_buffer
      - .offset:         40
        .size:           8
        .value_kind:     by_value
      - .address_space:  global
        .offset:         48
        .size:           8
        .value_kind:     global_buffer
      - .address_space:  global
        .offset:         56
        .size:           8
        .value_kind:     global_buffer
      - .address_space:  global
        .offset:         64
        .size:           8
        .value_kind:     global_buffer
      - .address_space:  global
        .offset:         72
        .size:           8
        .value_kind:     global_buffer
      - .offset:         80
        .size:           4
        .value_kind:     by_value
      - .address_space:  global
        .offset:         88
        .size:           8
        .value_kind:     global_buffer
      - .address_space:  global
        .offset:         96
        .size:           8
        .value_kind:     global_buffer
    .group_segment_fixed_size: 4160
    .kernarg_segment_align: 8
    .kernarg_segment_size: 104
    .language:       OpenCL C
    .language_version:
      - 2
      - 0
    .max_flat_workgroup_size: 52
    .name:           bluestein_single_fwd_len520_dim1_sp_op_CI_CI
    .private_segment_fixed_size: 0
    .sgpr_count:     16
    .sgpr_spill_count: 0
    .symbol:         bluestein_single_fwd_len520_dim1_sp_op_CI_CI.kd
    .uniform_work_group_size: 1
    .uses_dynamic_stack: false
    .vgpr_count:     183
    .vgpr_spill_count: 0
    .wavefront_size: 32
    .workgroup_processor_mode: 1
amdhsa.target:   amdgcn-amd-amdhsa--gfx1201
amdhsa.version:
  - 1
  - 2
...

	.end_amdgpu_metadata
